;; amdgpu-corpus repo=pytorch/pytorch kind=compiled arch=gfx906 opt=O3
	.amdgcn_target "amdgcn-amd-amdhsa--gfx906"
	.amdhsa_code_object_version 6
	.section	.text._ZN7rocprim17ROCPRIM_304000_NS6detail31init_lookback_scan_state_kernelINS1_19lookback_scan_stateIhLb1ELb1EEEEEvT_jjPNS5_10value_typeE,"axG",@progbits,_ZN7rocprim17ROCPRIM_304000_NS6detail31init_lookback_scan_state_kernelINS1_19lookback_scan_stateIhLb1ELb1EEEEEvT_jjPNS5_10value_typeE,comdat
	.protected	_ZN7rocprim17ROCPRIM_304000_NS6detail31init_lookback_scan_state_kernelINS1_19lookback_scan_stateIhLb1ELb1EEEEEvT_jjPNS5_10value_typeE ; -- Begin function _ZN7rocprim17ROCPRIM_304000_NS6detail31init_lookback_scan_state_kernelINS1_19lookback_scan_stateIhLb1ELb1EEEEEvT_jjPNS5_10value_typeE
	.globl	_ZN7rocprim17ROCPRIM_304000_NS6detail31init_lookback_scan_state_kernelINS1_19lookback_scan_stateIhLb1ELb1EEEEEvT_jjPNS5_10value_typeE
	.p2align	8
	.type	_ZN7rocprim17ROCPRIM_304000_NS6detail31init_lookback_scan_state_kernelINS1_19lookback_scan_stateIhLb1ELb1EEEEEvT_jjPNS5_10value_typeE,@function
_ZN7rocprim17ROCPRIM_304000_NS6detail31init_lookback_scan_state_kernelINS1_19lookback_scan_stateIhLb1ELb1EEEEEvT_jjPNS5_10value_typeE: ; @_ZN7rocprim17ROCPRIM_304000_NS6detail31init_lookback_scan_state_kernelINS1_19lookback_scan_stateIhLb1ELb1EEEEEvT_jjPNS5_10value_typeE
; %bb.0:
	s_load_dword s7, s[4:5], 0x24
	s_load_dwordx2 s[8:9], s[4:5], 0x10
	s_load_dwordx4 s[0:3], s[4:5], 0x0
	s_waitcnt lgkmcnt(0)
	s_and_b32 s4, s7, 0xffff
	s_mul_i32 s6, s6, s4
	s_cmp_eq_u64 s[8:9], 0
	v_add_u32_e32 v0, s6, v0
	s_cbranch_scc1 .LBB0_8
; %bb.1:
	s_cmp_lt_u32 s3, s2
	s_cselect_b32 s4, s3, 0
	s_mov_b32 s7, 0
	v_cmp_eq_u32_e32 vcc, s4, v0
	s_and_saveexec_b64 s[4:5], vcc
	s_cbranch_execz .LBB0_7
; %bb.2:
	s_add_i32 s6, s3, 64
	s_lshl_b64 s[6:7], s[6:7], 1
	s_add_u32 s6, s0, s6
	s_addc_u32 s7, s1, s7
	v_mov_b32_e32 v1, 0
	global_load_ushort v2, v1, s[6:7] glc
	s_movk_i32 s3, 0xff
	s_waitcnt vmcnt(0)
	v_cmp_gt_u32_sdwa s[10:11], v2, s3 src0_sel:WORD_0 src1_sel:DWORD
	s_and_b64 vcc, exec, s[10:11]
	s_mov_b32 s10, 1
	s_cbranch_vccnz .LBB0_6
.LBB0_3:                                ; =>This Loop Header: Depth=1
                                        ;     Child Loop BB0_4 Depth 2
	s_mov_b32 s11, s10
.LBB0_4:                                ;   Parent Loop BB0_3 Depth=1
                                        ; =>  This Inner Loop Header: Depth=2
	s_add_i32 s11, s11, -1
	s_cmp_eq_u32 s11, 0
	s_sleep 1
	s_cbranch_scc0 .LBB0_4
; %bb.5:                                ;   in Loop: Header=BB0_3 Depth=1
	global_load_ushort v2, v1, s[6:7] glc
	s_cmp_lt_u32 s10, 32
	s_cselect_b64 s[12:13], -1, 0
	s_cmp_lg_u64 s[12:13], 0
	s_addc_u32 s10, s10, 0
	s_waitcnt vmcnt(0)
	v_cmp_gt_u32_sdwa s[12:13], v2, s3 src0_sel:WORD_0 src1_sel:DWORD
	s_and_b64 vcc, exec, s[12:13]
	s_cbranch_vccz .LBB0_3
.LBB0_6:
	v_mov_b32_e32 v1, 0
	global_store_byte v1, v2, s[8:9]
.LBB0_7:
	s_or_b64 exec, exec, s[4:5]
.LBB0_8:
	v_cmp_gt_u32_e32 vcc, s2, v0
	s_and_saveexec_b64 s[2:3], vcc
	s_cbranch_execnz .LBB0_11
; %bb.9:
	s_or_b64 exec, exec, s[2:3]
	v_cmp_gt_u32_e32 vcc, 64, v0
	s_and_saveexec_b64 s[2:3], vcc
	s_cbranch_execnz .LBB0_12
.LBB0_10:
	s_endpgm
.LBB0_11:
	v_add_u32_e32 v1, 64, v0
	v_mov_b32_e32 v2, 0
	v_lshlrev_b64 v[3:4], 1, v[1:2]
	v_mov_b32_e32 v1, s1
	v_add_co_u32_e32 v3, vcc, s0, v3
	v_addc_co_u32_e32 v4, vcc, v1, v4, vcc
	global_store_short v[3:4], v2, off
	s_or_b64 exec, exec, s[2:3]
	v_cmp_gt_u32_e32 vcc, 64, v0
	s_and_saveexec_b64 s[2:3], vcc
	s_cbranch_execz .LBB0_10
.LBB0_12:
	v_mov_b32_e32 v1, 0
	v_lshlrev_b64 v[0:1], 1, v[0:1]
	v_mov_b32_e32 v2, s1
	v_add_co_u32_e32 v0, vcc, s0, v0
	v_addc_co_u32_e32 v1, vcc, v2, v1, vcc
	v_mov_b32_e32 v2, 0xffffff00
	global_store_short v[0:1], v2, off
	s_endpgm
	.section	.rodata,"a",@progbits
	.p2align	6, 0x0
	.amdhsa_kernel _ZN7rocprim17ROCPRIM_304000_NS6detail31init_lookback_scan_state_kernelINS1_19lookback_scan_stateIhLb1ELb1EEEEEvT_jjPNS5_10value_typeE
		.amdhsa_group_segment_fixed_size 0
		.amdhsa_private_segment_fixed_size 0
		.amdhsa_kernarg_size 280
		.amdhsa_user_sgpr_count 6
		.amdhsa_user_sgpr_private_segment_buffer 1
		.amdhsa_user_sgpr_dispatch_ptr 0
		.amdhsa_user_sgpr_queue_ptr 0
		.amdhsa_user_sgpr_kernarg_segment_ptr 1
		.amdhsa_user_sgpr_dispatch_id 0
		.amdhsa_user_sgpr_flat_scratch_init 0
		.amdhsa_user_sgpr_private_segment_size 0
		.amdhsa_uses_dynamic_stack 0
		.amdhsa_system_sgpr_private_segment_wavefront_offset 0
		.amdhsa_system_sgpr_workgroup_id_x 1
		.amdhsa_system_sgpr_workgroup_id_y 0
		.amdhsa_system_sgpr_workgroup_id_z 0
		.amdhsa_system_sgpr_workgroup_info 0
		.amdhsa_system_vgpr_workitem_id 0
		.amdhsa_next_free_vgpr 5
		.amdhsa_next_free_sgpr 14
		.amdhsa_reserve_vcc 1
		.amdhsa_reserve_flat_scratch 0
		.amdhsa_float_round_mode_32 0
		.amdhsa_float_round_mode_16_64 0
		.amdhsa_float_denorm_mode_32 3
		.amdhsa_float_denorm_mode_16_64 3
		.amdhsa_dx10_clamp 1
		.amdhsa_ieee_mode 1
		.amdhsa_fp16_overflow 0
		.amdhsa_exception_fp_ieee_invalid_op 0
		.amdhsa_exception_fp_denorm_src 0
		.amdhsa_exception_fp_ieee_div_zero 0
		.amdhsa_exception_fp_ieee_overflow 0
		.amdhsa_exception_fp_ieee_underflow 0
		.amdhsa_exception_fp_ieee_inexact 0
		.amdhsa_exception_int_div_zero 0
	.end_amdhsa_kernel
	.section	.text._ZN7rocprim17ROCPRIM_304000_NS6detail31init_lookback_scan_state_kernelINS1_19lookback_scan_stateIhLb1ELb1EEEEEvT_jjPNS5_10value_typeE,"axG",@progbits,_ZN7rocprim17ROCPRIM_304000_NS6detail31init_lookback_scan_state_kernelINS1_19lookback_scan_stateIhLb1ELb1EEEEEvT_jjPNS5_10value_typeE,comdat
.Lfunc_end0:
	.size	_ZN7rocprim17ROCPRIM_304000_NS6detail31init_lookback_scan_state_kernelINS1_19lookback_scan_stateIhLb1ELb1EEEEEvT_jjPNS5_10value_typeE, .Lfunc_end0-_ZN7rocprim17ROCPRIM_304000_NS6detail31init_lookback_scan_state_kernelINS1_19lookback_scan_stateIhLb1ELb1EEEEEvT_jjPNS5_10value_typeE
                                        ; -- End function
	.set _ZN7rocprim17ROCPRIM_304000_NS6detail31init_lookback_scan_state_kernelINS1_19lookback_scan_stateIhLb1ELb1EEEEEvT_jjPNS5_10value_typeE.num_vgpr, 5
	.set _ZN7rocprim17ROCPRIM_304000_NS6detail31init_lookback_scan_state_kernelINS1_19lookback_scan_stateIhLb1ELb1EEEEEvT_jjPNS5_10value_typeE.num_agpr, 0
	.set _ZN7rocprim17ROCPRIM_304000_NS6detail31init_lookback_scan_state_kernelINS1_19lookback_scan_stateIhLb1ELb1EEEEEvT_jjPNS5_10value_typeE.numbered_sgpr, 14
	.set _ZN7rocprim17ROCPRIM_304000_NS6detail31init_lookback_scan_state_kernelINS1_19lookback_scan_stateIhLb1ELb1EEEEEvT_jjPNS5_10value_typeE.num_named_barrier, 0
	.set _ZN7rocprim17ROCPRIM_304000_NS6detail31init_lookback_scan_state_kernelINS1_19lookback_scan_stateIhLb1ELb1EEEEEvT_jjPNS5_10value_typeE.private_seg_size, 0
	.set _ZN7rocprim17ROCPRIM_304000_NS6detail31init_lookback_scan_state_kernelINS1_19lookback_scan_stateIhLb1ELb1EEEEEvT_jjPNS5_10value_typeE.uses_vcc, 1
	.set _ZN7rocprim17ROCPRIM_304000_NS6detail31init_lookback_scan_state_kernelINS1_19lookback_scan_stateIhLb1ELb1EEEEEvT_jjPNS5_10value_typeE.uses_flat_scratch, 0
	.set _ZN7rocprim17ROCPRIM_304000_NS6detail31init_lookback_scan_state_kernelINS1_19lookback_scan_stateIhLb1ELb1EEEEEvT_jjPNS5_10value_typeE.has_dyn_sized_stack, 0
	.set _ZN7rocprim17ROCPRIM_304000_NS6detail31init_lookback_scan_state_kernelINS1_19lookback_scan_stateIhLb1ELb1EEEEEvT_jjPNS5_10value_typeE.has_recursion, 0
	.set _ZN7rocprim17ROCPRIM_304000_NS6detail31init_lookback_scan_state_kernelINS1_19lookback_scan_stateIhLb1ELb1EEEEEvT_jjPNS5_10value_typeE.has_indirect_call, 0
	.section	.AMDGPU.csdata,"",@progbits
; Kernel info:
; codeLenInByte = 340
; TotalNumSgprs: 18
; NumVgprs: 5
; ScratchSize: 0
; MemoryBound: 0
; FloatMode: 240
; IeeeMode: 1
; LDSByteSize: 0 bytes/workgroup (compile time only)
; SGPRBlocks: 2
; VGPRBlocks: 1
; NumSGPRsForWavesPerEU: 18
; NumVGPRsForWavesPerEU: 5
; Occupancy: 10
; WaveLimiterHint : 0
; COMPUTE_PGM_RSRC2:SCRATCH_EN: 0
; COMPUTE_PGM_RSRC2:USER_SGPR: 6
; COMPUTE_PGM_RSRC2:TRAP_HANDLER: 0
; COMPUTE_PGM_RSRC2:TGID_X_EN: 1
; COMPUTE_PGM_RSRC2:TGID_Y_EN: 0
; COMPUTE_PGM_RSRC2:TGID_Z_EN: 0
; COMPUTE_PGM_RSRC2:TIDIG_COMP_CNT: 0
	.section	.text._ZN7rocprim17ROCPRIM_304000_NS6detail31init_lookback_scan_state_kernelINS1_19lookback_scan_stateIhLb0ELb1EEEEEvT_jjPNS5_10value_typeE,"axG",@progbits,_ZN7rocprim17ROCPRIM_304000_NS6detail31init_lookback_scan_state_kernelINS1_19lookback_scan_stateIhLb0ELb1EEEEEvT_jjPNS5_10value_typeE,comdat
	.protected	_ZN7rocprim17ROCPRIM_304000_NS6detail31init_lookback_scan_state_kernelINS1_19lookback_scan_stateIhLb0ELb1EEEEEvT_jjPNS5_10value_typeE ; -- Begin function _ZN7rocprim17ROCPRIM_304000_NS6detail31init_lookback_scan_state_kernelINS1_19lookback_scan_stateIhLb0ELb1EEEEEvT_jjPNS5_10value_typeE
	.globl	_ZN7rocprim17ROCPRIM_304000_NS6detail31init_lookback_scan_state_kernelINS1_19lookback_scan_stateIhLb0ELb1EEEEEvT_jjPNS5_10value_typeE
	.p2align	8
	.type	_ZN7rocprim17ROCPRIM_304000_NS6detail31init_lookback_scan_state_kernelINS1_19lookback_scan_stateIhLb0ELb1EEEEEvT_jjPNS5_10value_typeE,@function
_ZN7rocprim17ROCPRIM_304000_NS6detail31init_lookback_scan_state_kernelINS1_19lookback_scan_stateIhLb0ELb1EEEEEvT_jjPNS5_10value_typeE: ; @_ZN7rocprim17ROCPRIM_304000_NS6detail31init_lookback_scan_state_kernelINS1_19lookback_scan_stateIhLb0ELb1EEEEEvT_jjPNS5_10value_typeE
; %bb.0:
	s_load_dword s7, s[4:5], 0x24
	s_load_dwordx2 s[8:9], s[4:5], 0x10
	s_load_dwordx4 s[0:3], s[4:5], 0x0
	s_waitcnt lgkmcnt(0)
	s_and_b32 s4, s7, 0xffff
	s_mul_i32 s6, s6, s4
	s_cmp_eq_u64 s[8:9], 0
	v_add_u32_e32 v0, s6, v0
	s_cbranch_scc1 .LBB1_7
; %bb.1:
	s_cmp_lt_u32 s3, s2
	s_cselect_b32 s4, s3, 0
	s_mov_b32 s7, 0
	v_cmp_eq_u32_e32 vcc, s4, v0
	s_and_saveexec_b64 s[4:5], vcc
	s_cbranch_execz .LBB1_6
; %bb.2:
	s_add_i32 s6, s3, 64
	s_lshl_b64 s[6:7], s[6:7], 1
	s_add_u32 s6, s0, s6
	s_addc_u32 s7, s1, s7
	v_mov_b32_e32 v2, 0
	global_load_ushort v1, v2, s[6:7] glc
	s_movk_i32 s3, 0xff
	s_waitcnt vmcnt(0)
	v_cmp_gt_u32_sdwa s[10:11], v1, s3 src0_sel:WORD_0 src1_sel:DWORD
	s_and_b64 vcc, exec, s[10:11]
	s_cbranch_vccnz .LBB1_5
; %bb.3:
	s_movk_i32 s3, 0x100
.LBB1_4:                                ; =>This Inner Loop Header: Depth=1
	global_load_ushort v1, v2, s[6:7] glc
	s_waitcnt vmcnt(0)
	v_cmp_lt_u32_sdwa s[10:11], v1, s3 src0_sel:WORD_0 src1_sel:DWORD
	s_and_b64 vcc, exec, s[10:11]
	s_cbranch_vccnz .LBB1_4
.LBB1_5:
	v_mov_b32_e32 v2, 0
	global_store_byte v2, v1, s[8:9]
.LBB1_6:
	s_or_b64 exec, exec, s[4:5]
.LBB1_7:
	v_cmp_gt_u32_e32 vcc, s2, v0
	s_and_saveexec_b64 s[2:3], vcc
	s_cbranch_execnz .LBB1_10
; %bb.8:
	s_or_b64 exec, exec, s[2:3]
	v_cmp_gt_u32_e32 vcc, 64, v0
	s_and_saveexec_b64 s[2:3], vcc
	s_cbranch_execnz .LBB1_11
.LBB1_9:
	s_endpgm
.LBB1_10:
	v_add_u32_e32 v1, 64, v0
	v_mov_b32_e32 v2, 0
	v_lshlrev_b64 v[3:4], 1, v[1:2]
	v_mov_b32_e32 v1, s1
	v_add_co_u32_e32 v3, vcc, s0, v3
	v_addc_co_u32_e32 v4, vcc, v1, v4, vcc
	global_store_short v[3:4], v2, off
	s_or_b64 exec, exec, s[2:3]
	v_cmp_gt_u32_e32 vcc, 64, v0
	s_and_saveexec_b64 s[2:3], vcc
	s_cbranch_execz .LBB1_9
.LBB1_11:
	v_mov_b32_e32 v1, 0
	v_lshlrev_b64 v[0:1], 1, v[0:1]
	v_mov_b32_e32 v2, s1
	v_add_co_u32_e32 v0, vcc, s0, v0
	v_addc_co_u32_e32 v1, vcc, v2, v1, vcc
	v_mov_b32_e32 v2, 0xffffff00
	global_store_short v[0:1], v2, off
	s_endpgm
	.section	.rodata,"a",@progbits
	.p2align	6, 0x0
	.amdhsa_kernel _ZN7rocprim17ROCPRIM_304000_NS6detail31init_lookback_scan_state_kernelINS1_19lookback_scan_stateIhLb0ELb1EEEEEvT_jjPNS5_10value_typeE
		.amdhsa_group_segment_fixed_size 0
		.amdhsa_private_segment_fixed_size 0
		.amdhsa_kernarg_size 280
		.amdhsa_user_sgpr_count 6
		.amdhsa_user_sgpr_private_segment_buffer 1
		.amdhsa_user_sgpr_dispatch_ptr 0
		.amdhsa_user_sgpr_queue_ptr 0
		.amdhsa_user_sgpr_kernarg_segment_ptr 1
		.amdhsa_user_sgpr_dispatch_id 0
		.amdhsa_user_sgpr_flat_scratch_init 0
		.amdhsa_user_sgpr_private_segment_size 0
		.amdhsa_uses_dynamic_stack 0
		.amdhsa_system_sgpr_private_segment_wavefront_offset 0
		.amdhsa_system_sgpr_workgroup_id_x 1
		.amdhsa_system_sgpr_workgroup_id_y 0
		.amdhsa_system_sgpr_workgroup_id_z 0
		.amdhsa_system_sgpr_workgroup_info 0
		.amdhsa_system_vgpr_workitem_id 0
		.amdhsa_next_free_vgpr 5
		.amdhsa_next_free_sgpr 12
		.amdhsa_reserve_vcc 1
		.amdhsa_reserve_flat_scratch 0
		.amdhsa_float_round_mode_32 0
		.amdhsa_float_round_mode_16_64 0
		.amdhsa_float_denorm_mode_32 3
		.amdhsa_float_denorm_mode_16_64 3
		.amdhsa_dx10_clamp 1
		.amdhsa_ieee_mode 1
		.amdhsa_fp16_overflow 0
		.amdhsa_exception_fp_ieee_invalid_op 0
		.amdhsa_exception_fp_denorm_src 0
		.amdhsa_exception_fp_ieee_div_zero 0
		.amdhsa_exception_fp_ieee_overflow 0
		.amdhsa_exception_fp_ieee_underflow 0
		.amdhsa_exception_fp_ieee_inexact 0
		.amdhsa_exception_int_div_zero 0
	.end_amdhsa_kernel
	.section	.text._ZN7rocprim17ROCPRIM_304000_NS6detail31init_lookback_scan_state_kernelINS1_19lookback_scan_stateIhLb0ELb1EEEEEvT_jjPNS5_10value_typeE,"axG",@progbits,_ZN7rocprim17ROCPRIM_304000_NS6detail31init_lookback_scan_state_kernelINS1_19lookback_scan_stateIhLb0ELb1EEEEEvT_jjPNS5_10value_typeE,comdat
.Lfunc_end1:
	.size	_ZN7rocprim17ROCPRIM_304000_NS6detail31init_lookback_scan_state_kernelINS1_19lookback_scan_stateIhLb0ELb1EEEEEvT_jjPNS5_10value_typeE, .Lfunc_end1-_ZN7rocprim17ROCPRIM_304000_NS6detail31init_lookback_scan_state_kernelINS1_19lookback_scan_stateIhLb0ELb1EEEEEvT_jjPNS5_10value_typeE
                                        ; -- End function
	.set _ZN7rocprim17ROCPRIM_304000_NS6detail31init_lookback_scan_state_kernelINS1_19lookback_scan_stateIhLb0ELb1EEEEEvT_jjPNS5_10value_typeE.num_vgpr, 5
	.set _ZN7rocprim17ROCPRIM_304000_NS6detail31init_lookback_scan_state_kernelINS1_19lookback_scan_stateIhLb0ELb1EEEEEvT_jjPNS5_10value_typeE.num_agpr, 0
	.set _ZN7rocprim17ROCPRIM_304000_NS6detail31init_lookback_scan_state_kernelINS1_19lookback_scan_stateIhLb0ELb1EEEEEvT_jjPNS5_10value_typeE.numbered_sgpr, 12
	.set _ZN7rocprim17ROCPRIM_304000_NS6detail31init_lookback_scan_state_kernelINS1_19lookback_scan_stateIhLb0ELb1EEEEEvT_jjPNS5_10value_typeE.num_named_barrier, 0
	.set _ZN7rocprim17ROCPRIM_304000_NS6detail31init_lookback_scan_state_kernelINS1_19lookback_scan_stateIhLb0ELb1EEEEEvT_jjPNS5_10value_typeE.private_seg_size, 0
	.set _ZN7rocprim17ROCPRIM_304000_NS6detail31init_lookback_scan_state_kernelINS1_19lookback_scan_stateIhLb0ELb1EEEEEvT_jjPNS5_10value_typeE.uses_vcc, 1
	.set _ZN7rocprim17ROCPRIM_304000_NS6detail31init_lookback_scan_state_kernelINS1_19lookback_scan_stateIhLb0ELb1EEEEEvT_jjPNS5_10value_typeE.uses_flat_scratch, 0
	.set _ZN7rocprim17ROCPRIM_304000_NS6detail31init_lookback_scan_state_kernelINS1_19lookback_scan_stateIhLb0ELb1EEEEEvT_jjPNS5_10value_typeE.has_dyn_sized_stack, 0
	.set _ZN7rocprim17ROCPRIM_304000_NS6detail31init_lookback_scan_state_kernelINS1_19lookback_scan_stateIhLb0ELb1EEEEEvT_jjPNS5_10value_typeE.has_recursion, 0
	.set _ZN7rocprim17ROCPRIM_304000_NS6detail31init_lookback_scan_state_kernelINS1_19lookback_scan_stateIhLb0ELb1EEEEEvT_jjPNS5_10value_typeE.has_indirect_call, 0
	.section	.AMDGPU.csdata,"",@progbits
; Kernel info:
; codeLenInByte = 304
; TotalNumSgprs: 16
; NumVgprs: 5
; ScratchSize: 0
; MemoryBound: 0
; FloatMode: 240
; IeeeMode: 1
; LDSByteSize: 0 bytes/workgroup (compile time only)
; SGPRBlocks: 1
; VGPRBlocks: 1
; NumSGPRsForWavesPerEU: 16
; NumVGPRsForWavesPerEU: 5
; Occupancy: 10
; WaveLimiterHint : 0
; COMPUTE_PGM_RSRC2:SCRATCH_EN: 0
; COMPUTE_PGM_RSRC2:USER_SGPR: 6
; COMPUTE_PGM_RSRC2:TRAP_HANDLER: 0
; COMPUTE_PGM_RSRC2:TGID_X_EN: 1
; COMPUTE_PGM_RSRC2:TGID_Y_EN: 0
; COMPUTE_PGM_RSRC2:TGID_Z_EN: 0
; COMPUTE_PGM_RSRC2:TIDIG_COMP_CNT: 0
	.section	.text._ZN7rocprim17ROCPRIM_304000_NS6detail20lookback_scan_kernelILNS1_25lookback_scan_determinismE0ELb0ENS1_19wrapped_scan_configINS0_14default_configEhEEPKhPhSt10multipliesIhEhhNS1_19lookback_scan_stateIhLb1ELb1EEEEEvT2_T3_mT5_T4_T7_jPT6_SK_bb,"axG",@progbits,_ZN7rocprim17ROCPRIM_304000_NS6detail20lookback_scan_kernelILNS1_25lookback_scan_determinismE0ELb0ENS1_19wrapped_scan_configINS0_14default_configEhEEPKhPhSt10multipliesIhEhhNS1_19lookback_scan_stateIhLb1ELb1EEEEEvT2_T3_mT5_T4_T7_jPT6_SK_bb,comdat
	.protected	_ZN7rocprim17ROCPRIM_304000_NS6detail20lookback_scan_kernelILNS1_25lookback_scan_determinismE0ELb0ENS1_19wrapped_scan_configINS0_14default_configEhEEPKhPhSt10multipliesIhEhhNS1_19lookback_scan_stateIhLb1ELb1EEEEEvT2_T3_mT5_T4_T7_jPT6_SK_bb ; -- Begin function _ZN7rocprim17ROCPRIM_304000_NS6detail20lookback_scan_kernelILNS1_25lookback_scan_determinismE0ELb0ENS1_19wrapped_scan_configINS0_14default_configEhEEPKhPhSt10multipliesIhEhhNS1_19lookback_scan_stateIhLb1ELb1EEEEEvT2_T3_mT5_T4_T7_jPT6_SK_bb
	.globl	_ZN7rocprim17ROCPRIM_304000_NS6detail20lookback_scan_kernelILNS1_25lookback_scan_determinismE0ELb0ENS1_19wrapped_scan_configINS0_14default_configEhEEPKhPhSt10multipliesIhEhhNS1_19lookback_scan_stateIhLb1ELb1EEEEEvT2_T3_mT5_T4_T7_jPT6_SK_bb
	.p2align	8
	.type	_ZN7rocprim17ROCPRIM_304000_NS6detail20lookback_scan_kernelILNS1_25lookback_scan_determinismE0ELb0ENS1_19wrapped_scan_configINS0_14default_configEhEEPKhPhSt10multipliesIhEhhNS1_19lookback_scan_stateIhLb1ELb1EEEEEvT2_T3_mT5_T4_T7_jPT6_SK_bb,@function
_ZN7rocprim17ROCPRIM_304000_NS6detail20lookback_scan_kernelILNS1_25lookback_scan_determinismE0ELb0ENS1_19wrapped_scan_configINS0_14default_configEhEEPKhPhSt10multipliesIhEhhNS1_19lookback_scan_stateIhLb1ELb1EEEEEvT2_T3_mT5_T4_T7_jPT6_SK_bb: ; @_ZN7rocprim17ROCPRIM_304000_NS6detail20lookback_scan_kernelILNS1_25lookback_scan_determinismE0ELb0ENS1_19wrapped_scan_configINS0_14default_configEhEEPKhPhSt10multipliesIhEhhNS1_19lookback_scan_stateIhLb1ELb1EEEEEvT2_T3_mT5_T4_T7_jPT6_SK_bb
; %bb.0:
	s_endpgm
	.section	.rodata,"a",@progbits
	.p2align	6, 0x0
	.amdhsa_kernel _ZN7rocprim17ROCPRIM_304000_NS6detail20lookback_scan_kernelILNS1_25lookback_scan_determinismE0ELb0ENS1_19wrapped_scan_configINS0_14default_configEhEEPKhPhSt10multipliesIhEhhNS1_19lookback_scan_stateIhLb1ELb1EEEEEvT2_T3_mT5_T4_T7_jPT6_SK_bb
		.amdhsa_group_segment_fixed_size 0
		.amdhsa_private_segment_fixed_size 0
		.amdhsa_kernarg_size 68
		.amdhsa_user_sgpr_count 6
		.amdhsa_user_sgpr_private_segment_buffer 1
		.amdhsa_user_sgpr_dispatch_ptr 0
		.amdhsa_user_sgpr_queue_ptr 0
		.amdhsa_user_sgpr_kernarg_segment_ptr 1
		.amdhsa_user_sgpr_dispatch_id 0
		.amdhsa_user_sgpr_flat_scratch_init 0
		.amdhsa_user_sgpr_private_segment_size 0
		.amdhsa_uses_dynamic_stack 0
		.amdhsa_system_sgpr_private_segment_wavefront_offset 0
		.amdhsa_system_sgpr_workgroup_id_x 1
		.amdhsa_system_sgpr_workgroup_id_y 0
		.amdhsa_system_sgpr_workgroup_id_z 0
		.amdhsa_system_sgpr_workgroup_info 0
		.amdhsa_system_vgpr_workitem_id 0
		.amdhsa_next_free_vgpr 1
		.amdhsa_next_free_sgpr 0
		.amdhsa_reserve_vcc 0
		.amdhsa_reserve_flat_scratch 0
		.amdhsa_float_round_mode_32 0
		.amdhsa_float_round_mode_16_64 0
		.amdhsa_float_denorm_mode_32 3
		.amdhsa_float_denorm_mode_16_64 3
		.amdhsa_dx10_clamp 1
		.amdhsa_ieee_mode 1
		.amdhsa_fp16_overflow 0
		.amdhsa_exception_fp_ieee_invalid_op 0
		.amdhsa_exception_fp_denorm_src 0
		.amdhsa_exception_fp_ieee_div_zero 0
		.amdhsa_exception_fp_ieee_overflow 0
		.amdhsa_exception_fp_ieee_underflow 0
		.amdhsa_exception_fp_ieee_inexact 0
		.amdhsa_exception_int_div_zero 0
	.end_amdhsa_kernel
	.section	.text._ZN7rocprim17ROCPRIM_304000_NS6detail20lookback_scan_kernelILNS1_25lookback_scan_determinismE0ELb0ENS1_19wrapped_scan_configINS0_14default_configEhEEPKhPhSt10multipliesIhEhhNS1_19lookback_scan_stateIhLb1ELb1EEEEEvT2_T3_mT5_T4_T7_jPT6_SK_bb,"axG",@progbits,_ZN7rocprim17ROCPRIM_304000_NS6detail20lookback_scan_kernelILNS1_25lookback_scan_determinismE0ELb0ENS1_19wrapped_scan_configINS0_14default_configEhEEPKhPhSt10multipliesIhEhhNS1_19lookback_scan_stateIhLb1ELb1EEEEEvT2_T3_mT5_T4_T7_jPT6_SK_bb,comdat
.Lfunc_end2:
	.size	_ZN7rocprim17ROCPRIM_304000_NS6detail20lookback_scan_kernelILNS1_25lookback_scan_determinismE0ELb0ENS1_19wrapped_scan_configINS0_14default_configEhEEPKhPhSt10multipliesIhEhhNS1_19lookback_scan_stateIhLb1ELb1EEEEEvT2_T3_mT5_T4_T7_jPT6_SK_bb, .Lfunc_end2-_ZN7rocprim17ROCPRIM_304000_NS6detail20lookback_scan_kernelILNS1_25lookback_scan_determinismE0ELb0ENS1_19wrapped_scan_configINS0_14default_configEhEEPKhPhSt10multipliesIhEhhNS1_19lookback_scan_stateIhLb1ELb1EEEEEvT2_T3_mT5_T4_T7_jPT6_SK_bb
                                        ; -- End function
	.set _ZN7rocprim17ROCPRIM_304000_NS6detail20lookback_scan_kernelILNS1_25lookback_scan_determinismE0ELb0ENS1_19wrapped_scan_configINS0_14default_configEhEEPKhPhSt10multipliesIhEhhNS1_19lookback_scan_stateIhLb1ELb1EEEEEvT2_T3_mT5_T4_T7_jPT6_SK_bb.num_vgpr, 0
	.set _ZN7rocprim17ROCPRIM_304000_NS6detail20lookback_scan_kernelILNS1_25lookback_scan_determinismE0ELb0ENS1_19wrapped_scan_configINS0_14default_configEhEEPKhPhSt10multipliesIhEhhNS1_19lookback_scan_stateIhLb1ELb1EEEEEvT2_T3_mT5_T4_T7_jPT6_SK_bb.num_agpr, 0
	.set _ZN7rocprim17ROCPRIM_304000_NS6detail20lookback_scan_kernelILNS1_25lookback_scan_determinismE0ELb0ENS1_19wrapped_scan_configINS0_14default_configEhEEPKhPhSt10multipliesIhEhhNS1_19lookback_scan_stateIhLb1ELb1EEEEEvT2_T3_mT5_T4_T7_jPT6_SK_bb.numbered_sgpr, 0
	.set _ZN7rocprim17ROCPRIM_304000_NS6detail20lookback_scan_kernelILNS1_25lookback_scan_determinismE0ELb0ENS1_19wrapped_scan_configINS0_14default_configEhEEPKhPhSt10multipliesIhEhhNS1_19lookback_scan_stateIhLb1ELb1EEEEEvT2_T3_mT5_T4_T7_jPT6_SK_bb.num_named_barrier, 0
	.set _ZN7rocprim17ROCPRIM_304000_NS6detail20lookback_scan_kernelILNS1_25lookback_scan_determinismE0ELb0ENS1_19wrapped_scan_configINS0_14default_configEhEEPKhPhSt10multipliesIhEhhNS1_19lookback_scan_stateIhLb1ELb1EEEEEvT2_T3_mT5_T4_T7_jPT6_SK_bb.private_seg_size, 0
	.set _ZN7rocprim17ROCPRIM_304000_NS6detail20lookback_scan_kernelILNS1_25lookback_scan_determinismE0ELb0ENS1_19wrapped_scan_configINS0_14default_configEhEEPKhPhSt10multipliesIhEhhNS1_19lookback_scan_stateIhLb1ELb1EEEEEvT2_T3_mT5_T4_T7_jPT6_SK_bb.uses_vcc, 0
	.set _ZN7rocprim17ROCPRIM_304000_NS6detail20lookback_scan_kernelILNS1_25lookback_scan_determinismE0ELb0ENS1_19wrapped_scan_configINS0_14default_configEhEEPKhPhSt10multipliesIhEhhNS1_19lookback_scan_stateIhLb1ELb1EEEEEvT2_T3_mT5_T4_T7_jPT6_SK_bb.uses_flat_scratch, 0
	.set _ZN7rocprim17ROCPRIM_304000_NS6detail20lookback_scan_kernelILNS1_25lookback_scan_determinismE0ELb0ENS1_19wrapped_scan_configINS0_14default_configEhEEPKhPhSt10multipliesIhEhhNS1_19lookback_scan_stateIhLb1ELb1EEEEEvT2_T3_mT5_T4_T7_jPT6_SK_bb.has_dyn_sized_stack, 0
	.set _ZN7rocprim17ROCPRIM_304000_NS6detail20lookback_scan_kernelILNS1_25lookback_scan_determinismE0ELb0ENS1_19wrapped_scan_configINS0_14default_configEhEEPKhPhSt10multipliesIhEhhNS1_19lookback_scan_stateIhLb1ELb1EEEEEvT2_T3_mT5_T4_T7_jPT6_SK_bb.has_recursion, 0
	.set _ZN7rocprim17ROCPRIM_304000_NS6detail20lookback_scan_kernelILNS1_25lookback_scan_determinismE0ELb0ENS1_19wrapped_scan_configINS0_14default_configEhEEPKhPhSt10multipliesIhEhhNS1_19lookback_scan_stateIhLb1ELb1EEEEEvT2_T3_mT5_T4_T7_jPT6_SK_bb.has_indirect_call, 0
	.section	.AMDGPU.csdata,"",@progbits
; Kernel info:
; codeLenInByte = 4
; TotalNumSgprs: 4
; NumVgprs: 0
; ScratchSize: 0
; MemoryBound: 0
; FloatMode: 240
; IeeeMode: 1
; LDSByteSize: 0 bytes/workgroup (compile time only)
; SGPRBlocks: 0
; VGPRBlocks: 0
; NumSGPRsForWavesPerEU: 4
; NumVGPRsForWavesPerEU: 1
; Occupancy: 10
; WaveLimiterHint : 0
; COMPUTE_PGM_RSRC2:SCRATCH_EN: 0
; COMPUTE_PGM_RSRC2:USER_SGPR: 6
; COMPUTE_PGM_RSRC2:TRAP_HANDLER: 0
; COMPUTE_PGM_RSRC2:TGID_X_EN: 1
; COMPUTE_PGM_RSRC2:TGID_Y_EN: 0
; COMPUTE_PGM_RSRC2:TGID_Z_EN: 0
; COMPUTE_PGM_RSRC2:TIDIG_COMP_CNT: 0
	.section	.text._ZN7rocprim17ROCPRIM_304000_NS6detail20lookback_scan_kernelILNS1_25lookback_scan_determinismE0ELb0ENS1_19wrapped_scan_configINS0_14default_configEhEEPKhPhSt10multipliesIhEhhNS1_19lookback_scan_stateIhLb0ELb1EEEEEvT2_T3_mT5_T4_T7_jPT6_SK_bb,"axG",@progbits,_ZN7rocprim17ROCPRIM_304000_NS6detail20lookback_scan_kernelILNS1_25lookback_scan_determinismE0ELb0ENS1_19wrapped_scan_configINS0_14default_configEhEEPKhPhSt10multipliesIhEhhNS1_19lookback_scan_stateIhLb0ELb1EEEEEvT2_T3_mT5_T4_T7_jPT6_SK_bb,comdat
	.protected	_ZN7rocprim17ROCPRIM_304000_NS6detail20lookback_scan_kernelILNS1_25lookback_scan_determinismE0ELb0ENS1_19wrapped_scan_configINS0_14default_configEhEEPKhPhSt10multipliesIhEhhNS1_19lookback_scan_stateIhLb0ELb1EEEEEvT2_T3_mT5_T4_T7_jPT6_SK_bb ; -- Begin function _ZN7rocprim17ROCPRIM_304000_NS6detail20lookback_scan_kernelILNS1_25lookback_scan_determinismE0ELb0ENS1_19wrapped_scan_configINS0_14default_configEhEEPKhPhSt10multipliesIhEhhNS1_19lookback_scan_stateIhLb0ELb1EEEEEvT2_T3_mT5_T4_T7_jPT6_SK_bb
	.globl	_ZN7rocprim17ROCPRIM_304000_NS6detail20lookback_scan_kernelILNS1_25lookback_scan_determinismE0ELb0ENS1_19wrapped_scan_configINS0_14default_configEhEEPKhPhSt10multipliesIhEhhNS1_19lookback_scan_stateIhLb0ELb1EEEEEvT2_T3_mT5_T4_T7_jPT6_SK_bb
	.p2align	8
	.type	_ZN7rocprim17ROCPRIM_304000_NS6detail20lookback_scan_kernelILNS1_25lookback_scan_determinismE0ELb0ENS1_19wrapped_scan_configINS0_14default_configEhEEPKhPhSt10multipliesIhEhhNS1_19lookback_scan_stateIhLb0ELb1EEEEEvT2_T3_mT5_T4_T7_jPT6_SK_bb,@function
_ZN7rocprim17ROCPRIM_304000_NS6detail20lookback_scan_kernelILNS1_25lookback_scan_determinismE0ELb0ENS1_19wrapped_scan_configINS0_14default_configEhEEPKhPhSt10multipliesIhEhhNS1_19lookback_scan_stateIhLb0ELb1EEEEEvT2_T3_mT5_T4_T7_jPT6_SK_bb: ; @_ZN7rocprim17ROCPRIM_304000_NS6detail20lookback_scan_kernelILNS1_25lookback_scan_determinismE0ELb0ENS1_19wrapped_scan_configINS0_14default_configEhEEPKhPhSt10multipliesIhEhhNS1_19lookback_scan_stateIhLb0ELb1EEEEEvT2_T3_mT5_T4_T7_jPT6_SK_bb
; %bb.0:
	s_load_dword s2, s[4:5], 0x28
	s_load_dwordx2 s[0:1], s[4:5], 0x10
	s_load_dwordx4 s[12:15], s[4:5], 0x0
	s_mul_i32 s21, s6, 0x1800
	s_waitcnt lgkmcnt(0)
	s_add_i32 s2, s2, -1
	s_mul_i32 s3, s2, 0x1800
	s_sub_u32 s7, s0, s3
	s_subb_u32 s20, s1, 0
	s_cmp_lg_u32 s6, s2
	s_cselect_b64 s[16:17], -1, 0
	s_add_u32 s2, s12, s21
	s_addc_u32 s3, s13, 0
	s_mov_b64 s[0:1], -1
	s_and_b64 vcc, exec, s[16:17]
	s_cbranch_vccz .LBB3_2
; %bb.1:
	v_mov_b32_e32 v1, s3
	v_add_co_u32_e32 v2, vcc, s2, v0
	s_movk_i32 s0, 0x1000
	v_addc_co_u32_e32 v11, vcc, 0, v1, vcc
	v_add_co_u32_e32 v1, vcc, s0, v2
	global_load_ubyte v3, v0, s[2:3]
	global_load_ubyte v4, v0, s[2:3] offset:256
	global_load_ubyte v5, v0, s[2:3] offset:512
	;; [unrolled: 1-line block ×7, first 2 shown]
	v_addc_co_u32_e32 v2, vcc, 0, v11, vcc
	global_load_ubyte v11, v0, s[2:3] offset:2048
	global_load_ubyte v12, v0, s[2:3] offset:2304
	;; [unrolled: 1-line block ×8, first 2 shown]
	global_load_ubyte v19, v[1:2], off
	global_load_ubyte v20, v[1:2], off offset:256
	global_load_ubyte v21, v[1:2], off offset:512
	;; [unrolled: 1-line block ×6, first 2 shown]
	s_nop 0
	global_load_ubyte v1, v[1:2], off offset:1792
	s_mov_b64 s[0:1], 0
	s_waitcnt vmcnt(23)
	ds_write_b8 v0, v3
	s_waitcnt vmcnt(22)
	ds_write_b8 v0, v4 offset:256
	s_waitcnt vmcnt(21)
	ds_write_b8 v0, v5 offset:512
	s_waitcnt vmcnt(20)
	ds_write_b8 v0, v6 offset:768
	s_waitcnt vmcnt(19)
	ds_write_b8 v0, v7 offset:1024
	s_waitcnt vmcnt(18)
	ds_write_b8 v0, v8 offset:1280
	s_waitcnt vmcnt(17)
	ds_write_b8 v0, v9 offset:1536
	s_waitcnt vmcnt(16)
	ds_write_b8 v0, v10 offset:1792
	s_waitcnt vmcnt(15)
	ds_write_b8 v0, v11 offset:2048
	s_waitcnt vmcnt(14)
	ds_write_b8 v0, v12 offset:2304
	s_waitcnt vmcnt(13)
	ds_write_b8 v0, v13 offset:2560
	s_waitcnt vmcnt(12)
	ds_write_b8 v0, v14 offset:2816
	s_waitcnt vmcnt(11)
	ds_write_b8 v0, v15 offset:3072
	s_waitcnt vmcnt(10)
	ds_write_b8 v0, v16 offset:3328
	s_waitcnt vmcnt(9)
	ds_write_b8 v0, v17 offset:3584
	s_waitcnt vmcnt(8)
	ds_write_b8 v0, v18 offset:3840
	s_waitcnt vmcnt(7)
	ds_write_b8 v0, v19 offset:4096
	s_waitcnt vmcnt(6)
	ds_write_b8 v0, v20 offset:4352
	s_waitcnt vmcnt(5)
	ds_write_b8 v0, v21 offset:4608
	s_waitcnt vmcnt(4)
	ds_write_b8 v0, v22 offset:4864
	s_waitcnt vmcnt(3)
	ds_write_b8 v0, v23 offset:5120
	s_waitcnt vmcnt(2)
	ds_write_b8 v0, v24 offset:5376
	s_waitcnt vmcnt(1)
	ds_write_b8 v0, v25 offset:5632
	s_waitcnt vmcnt(0)
	ds_write_b8 v0, v1 offset:5888
	s_waitcnt lgkmcnt(0)
	s_barrier
.LBB3_2:
	s_andn2_b64 vcc, exec, s[0:1]
	v_cmp_gt_u32_e64 s[0:1], s7, v0
	s_cbranch_vccnz .LBB3_52
; %bb.3:
	v_mov_b32_e32 v1, 0
	global_load_ubyte v9, v1, s[2:3]
	v_mov_b32_e32 v1, s3
	v_add_co_u32_e32 v7, vcc, s2, v0
	v_addc_co_u32_e32 v8, vcc, 0, v1, vcc
	s_waitcnt vmcnt(0)
	v_readfirstlane_b32 s3, v9
	s_lshl_b32 s8, s3, 8
	s_or_b32 s3, s3, s8
	s_and_b32 s8, s3, 0xffff
	s_lshl_b32 s3, s3, 16
	s_or_b32 s8, s8, s3
	s_mov_b32 s9, s8
	s_mov_b32 s10, s8
	;; [unrolled: 1-line block ×5, first 2 shown]
	v_mov_b32_e32 v1, s8
	v_mov_b32_e32 v2, s9
	;; [unrolled: 1-line block ×6, first 2 shown]
	s_and_saveexec_b64 s[2:3], s[0:1]
	s_cbranch_execz .LBB3_5
; %bb.4:
	global_load_ubyte v9, v[7:8], off
	v_mov_b32_e32 v1, 0x3020104
	v_mov_b32_e32 v2, s8
	;; [unrolled: 1-line block ×6, first 2 shown]
	s_waitcnt vmcnt(0)
	v_perm_b32 v1, v9, s8, v1
.LBB3_5:
	s_or_b64 exec, exec, s[2:3]
	v_or_b32_e32 v10, 0x100, v0
	v_cmp_gt_u32_e32 vcc, s7, v10
	s_and_saveexec_b64 s[0:1], vcc
	s_cbranch_execz .LBB3_7
; %bb.6:
	global_load_ubyte v10, v[7:8], off offset:256
	s_mov_b32 s2, 0x7060004
	s_waitcnt vmcnt(0)
	v_perm_b32 v1, v1, v10, s2
.LBB3_7:
	s_or_b64 exec, exec, s[0:1]
	v_or_b32_e32 v10, 0x200, v0
	v_cmp_gt_u32_e32 vcc, s7, v10
	s_and_saveexec_b64 s[0:1], vcc
	s_cbranch_execz .LBB3_9
; %bb.8:
	global_load_ubyte v10, v[7:8], off offset:512
	s_mov_b32 s2, 0x7000504
	s_waitcnt vmcnt(0)
	v_perm_b32 v1, v1, v10, s2
.LBB3_9:
	;; [unrolled: 11-line block ×15, first 2 shown]
	s_or_b64 exec, exec, s[0:1]
	v_or_b32_e32 v10, 0x1000, v0
	v_cmp_gt_u32_e32 vcc, s7, v10
	s_and_saveexec_b64 s[0:1], vcc
	s_cbranch_execz .LBB3_37
; %bb.36:
	v_add_co_u32_e32 v10, vcc, 0x1000, v7
	v_addc_co_u32_e32 v11, vcc, 0, v8, vcc
	global_load_ubyte v10, v[10:11], off
	s_mov_b32 s2, 0x3020104
	s_waitcnt vmcnt(0)
	v_perm_b32 v5, v10, v5, s2
.LBB3_37:
	s_or_b64 exec, exec, s[0:1]
	v_or_b32_e32 v10, 0x1100, v0
	v_cmp_gt_u32_e32 vcc, s7, v10
	s_and_saveexec_b64 s[0:1], vcc
	s_cbranch_execz .LBB3_39
; %bb.38:
	v_add_co_u32_e32 v10, vcc, 0x1000, v7
	v_addc_co_u32_e32 v11, vcc, 0, v8, vcc
	global_load_ubyte v10, v[10:11], off offset:256
	s_mov_b32 s2, 0x7060004
	s_waitcnt vmcnt(0)
	v_perm_b32 v5, v5, v10, s2
.LBB3_39:
	s_or_b64 exec, exec, s[0:1]
	v_or_b32_e32 v10, 0x1200, v0
	v_cmp_gt_u32_e32 vcc, s7, v10
	s_and_saveexec_b64 s[0:1], vcc
	s_cbranch_execz .LBB3_41
; %bb.40:
	v_add_co_u32_e32 v10, vcc, 0x1000, v7
	v_addc_co_u32_e32 v11, vcc, 0, v8, vcc
	global_load_ubyte v10, v[10:11], off offset:512
	s_mov_b32 s2, 0x7000504
	s_waitcnt vmcnt(0)
	v_perm_b32 v5, v5, v10, s2
.LBB3_41:
	;; [unrolled: 13-line block ×7, first 2 shown]
	s_or_b64 exec, exec, s[0:1]
	v_lshrrev_b32_e32 v7, 8, v1
	ds_write_b8 v0, v9
	ds_write_b8 v0, v7 offset:256
	ds_write_b8_d16_hi v0, v1 offset:512
	v_lshrrev_b32_e32 v1, 24, v1
	ds_write_b8 v0, v1 offset:768
	ds_write_b8 v0, v2 offset:1024
	v_lshrrev_b32_e32 v1, 8, v2
	ds_write_b8 v0, v1 offset:1280
	ds_write_b8_d16_hi v0, v2 offset:1536
	v_lshrrev_b32_e32 v1, 24, v2
	ds_write_b8 v0, v1 offset:1792
	ds_write_b8 v0, v3 offset:2048
	v_lshrrev_b32_e32 v1, 8, v3
	;; [unrolled: 6-line block ×5, first 2 shown]
	ds_write_b8 v0, v1 offset:5376
	ds_write_b8_d16_hi v0, v6 offset:5632
	v_lshrrev_b32_e32 v1, 24, v6
	ds_write_b8 v0, v1 offset:5888
	s_waitcnt lgkmcnt(0)
	s_barrier
.LBB3_52:
	v_mul_u32_u24_e32 v13, 24, v0
	s_load_dwordx2 s[12:13], s[4:5], 0x20
	s_waitcnt lgkmcnt(0)
	ds_read2_b64 v[7:10], v13 offset1:1
	ds_read_b64 v[11:12], v13 offset:16
	s_cmp_lg_u32 s6, 0
	v_mbcnt_lo_u32_b32 v16, -1, 0
	v_lshrrev_b32_e32 v14, 6, v0
	v_or_b32_e32 v15, 63, v0
	s_waitcnt lgkmcnt(0)
	s_barrier
	s_cbranch_scc0 .LBB3_74
; %bb.53:
	v_lshrrev_b32_e32 v17, 8, v7
	v_mul_lo_u16_e32 v1, v17, v7
	v_mul_lo_u16_sdwa v1, v1, v7 dst_sel:DWORD dst_unused:UNUSED_PAD src0_sel:DWORD src1_sel:WORD_1
	v_mul_lo_u16_sdwa v1, v1, v7 dst_sel:DWORD dst_unused:UNUSED_PAD src0_sel:DWORD src1_sel:BYTE_3
	v_mul_lo_u16_e32 v1, v1, v8
	v_lshrrev_b32_e32 v18, 8, v8
	v_mul_lo_u16_e32 v1, v1, v18
	v_mul_lo_u16_sdwa v1, v1, v8 dst_sel:DWORD dst_unused:UNUSED_PAD src0_sel:DWORD src1_sel:WORD_1
	v_mul_lo_u16_sdwa v1, v1, v8 dst_sel:DWORD dst_unused:UNUSED_PAD src0_sel:DWORD src1_sel:BYTE_3
	v_mul_lo_u16_e32 v1, v1, v9
	v_lshrrev_b32_e32 v19, 8, v9
	v_mul_lo_u16_e32 v1, v1, v19
	v_mul_lo_u16_sdwa v1, v1, v9 dst_sel:DWORD dst_unused:UNUSED_PAD src0_sel:DWORD src1_sel:WORD_1
	v_mul_lo_u16_sdwa v1, v1, v9 dst_sel:DWORD dst_unused:UNUSED_PAD src0_sel:DWORD src1_sel:BYTE_3
	v_mul_lo_u16_e32 v1, v1, v10
	v_lshrrev_b32_e32 v20, 8, v10
	v_mul_lo_u16_e32 v1, v1, v20
	v_mul_lo_u16_sdwa v1, v1, v10 dst_sel:DWORD dst_unused:UNUSED_PAD src0_sel:DWORD src1_sel:WORD_1
	v_mul_lo_u16_sdwa v1, v1, v10 dst_sel:DWORD dst_unused:UNUSED_PAD src0_sel:DWORD src1_sel:BYTE_3
	v_mul_lo_u16_e32 v1, v1, v11
	v_lshrrev_b32_e32 v21, 8, v11
	v_mul_lo_u16_e32 v1, v1, v21
	v_mul_lo_u16_sdwa v1, v1, v11 dst_sel:DWORD dst_unused:UNUSED_PAD src0_sel:DWORD src1_sel:WORD_1
	v_mul_lo_u16_sdwa v1, v1, v11 dst_sel:DWORD dst_unused:UNUSED_PAD src0_sel:DWORD src1_sel:BYTE_3
	v_mul_lo_u16_e32 v1, v1, v12
	v_lshrrev_b32_e32 v22, 8, v12
	v_mul_lo_u16_e32 v1, v1, v22
	v_mul_lo_u16_sdwa v1, v1, v12 dst_sel:DWORD dst_unused:UNUSED_PAD src0_sel:DWORD src1_sel:WORD_1
	v_mul_lo_u16_sdwa v1, v1, v12 dst_sel:DWORD dst_unused:UNUSED_PAD src0_sel:DWORD src1_sel:BYTE_3
	v_and_b32_e32 v2, 0xff, v1
	v_mbcnt_hi_u32_b32 v5, -1, v16
	v_and_b32_e32 v4, 15, v5
	v_mov_b32_dpp v3, v2 row_shr:1 row_mask:0xf bank_mask:0xf
	v_mul_lo_u16_e32 v3, v1, v3
	v_and_b32_e32 v6, 0xff, v3
	v_cmp_eq_u32_e32 vcc, 0, v4
	v_cndmask_b32_e32 v2, v6, v2, vcc
	v_cndmask_b32_e32 v1, v3, v1, vcc
	v_cmp_lt_u32_e32 vcc, 1, v4
	v_mov_b32_dpp v3, v2 row_shr:2 row_mask:0xf bank_mask:0xf
	v_mul_lo_u16_e32 v3, v1, v3
	v_and_b32_e32 v6, 0xff, v3
	v_cndmask_b32_e32 v2, v2, v6, vcc
	v_cndmask_b32_e32 v1, v1, v3, vcc
	v_cmp_lt_u32_e32 vcc, 3, v4
	v_mov_b32_dpp v3, v2 row_shr:4 row_mask:0xf bank_mask:0xf
	v_mul_lo_u16_e32 v3, v1, v3
	v_and_b32_e32 v6, 0xff, v3
	;; [unrolled: 6-line block ×3, first 2 shown]
	v_cndmask_b32_e32 v2, v2, v6, vcc
	v_cndmask_b32_e32 v1, v1, v3, vcc
	v_and_b32_e32 v4, 16, v5
	v_mov_b32_dpp v3, v2 row_bcast:15 row_mask:0xf bank_mask:0xf
	v_mul_lo_u16_e32 v3, v1, v3
	v_and_b32_e32 v6, 0xff, v3
	v_cmp_eq_u32_e32 vcc, 0, v4
	v_cndmask_b32_e32 v2, v6, v2, vcc
	v_cndmask_b32_e32 v1, v3, v1, vcc
	v_cmp_lt_u32_e32 vcc, 31, v5
	v_mov_b32_dpp v2, v2 row_bcast:31 row_mask:0xf bank_mask:0xf
	v_cndmask_b32_e32 v2, 1, v2, vcc
	v_mul_lo_u16_e32 v1, v1, v2
	v_cmp_eq_u32_e32 vcc, v0, v15
	s_and_saveexec_b64 s[0:1], vcc
; %bb.54:
	ds_write_b8 v14, v1
; %bb.55:
	s_or_b64 exec, exec, s[0:1]
	v_cmp_gt_u32_e32 vcc, 4, v0
	s_waitcnt lgkmcnt(0)
	s_barrier
	s_and_saveexec_b64 s[0:1], vcc
	s_cbranch_execz .LBB3_57
; %bb.56:
	ds_read_u8 v2, v0
	v_and_b32_e32 v3, 3, v5
	v_cmp_eq_u32_e32 vcc, 0, v3
	s_waitcnt lgkmcnt(0)
	v_and_b32_e32 v4, 0xff, v2
	s_nop 1
	v_mov_b32_dpp v6, v4 row_shr:1 row_mask:0xf bank_mask:0xf
	v_mul_lo_u16_e32 v6, v2, v6
	v_cndmask_b32_sdwa v4, v6, v4, vcc dst_sel:DWORD dst_unused:UNUSED_PAD src0_sel:BYTE_0 src1_sel:DWORD
	v_cndmask_b32_e32 v2, v6, v2, vcc
	v_cmp_lt_u32_e32 vcc, 1, v3
	v_mov_b32_dpp v4, v4 row_shr:2 row_mask:0xf bank_mask:0xf
	v_cndmask_b32_e32 v3, 1, v4, vcc
	v_mul_lo_u16_e32 v2, v2, v3
	ds_write_b8 v0, v2
.LBB3_57:
	s_or_b64 exec, exec, s[0:1]
	v_cmp_gt_u32_e32 vcc, 64, v0
	v_cmp_lt_u32_e64 s[0:1], 63, v0
	s_waitcnt lgkmcnt(0)
	s_barrier
                                        ; implicit-def: $vgpr23
	s_and_saveexec_b64 s[2:3], s[0:1]
	s_cbranch_execz .LBB3_59
; %bb.58:
	v_add_u32_e32 v2, -1, v14
	ds_read_u8 v23, v2
	s_waitcnt lgkmcnt(0)
	v_mul_lo_u16_e32 v1, v23, v1
.LBB3_59:
	s_or_b64 exec, exec, s[2:3]
	v_subrev_co_u32_e64 v2, s[0:1], 1, v5
	v_and_b32_e32 v3, 64, v5
	v_cmp_lt_i32_e64 s[2:3], v2, v3
	v_cndmask_b32_e64 v2, v2, v5, s[2:3]
	v_lshlrev_b32_e32 v2, 2, v2
	v_and_b32_e32 v1, 0xff, v1
	ds_bpermute_b32 v24, v2, v1
	s_and_saveexec_b64 s[18:19], vcc
	s_cbranch_execz .LBB3_79
; %bb.60:
	v_mov_b32_e32 v3, 0
	ds_read_u8 v25, v3 offset:3
	s_and_saveexec_b64 s[2:3], s[0:1]
	s_cbranch_execz .LBB3_62
; %bb.61:
	s_movk_i32 s8, 0x100
	s_waitcnt lgkmcnt(0)
	v_or_b32_sdwa v1, v25, s8 dst_sel:DWORD dst_unused:UNUSED_PAD src0_sel:BYTE_0 src1_sel:DWORD
	s_add_i32 s8, s6, 64
	s_mov_b32 s9, 0
	s_lshl_b64 s[8:9], s[8:9], 1
	s_add_u32 s8, s12, s8
	s_addc_u32 s9, s13, s9
	global_store_short v3, v1, s[8:9]
.LBB3_62:
	s_or_b64 exec, exec, s[2:3]
	v_xad_u32 v1, v5, -1, s6
	v_add_u32_e32 v2, 64, v1
	v_lshlrev_b64 v[2:3], 1, v[2:3]
	v_mov_b32_e32 v4, s13
	v_add_co_u32_e32 v2, vcc, s12, v2
	v_addc_co_u32_e32 v3, vcc, v4, v3, vcc
	global_load_ushort v6, v[2:3], off glc
	s_waitcnt vmcnt(0)
	v_lshrrev_b16_e32 v26, 8, v6
	v_cmp_eq_u16_e32 vcc, 0, v26
	s_and_saveexec_b64 s[2:3], vcc
	s_cbranch_execz .LBB3_66
; %bb.63:
	s_mov_b64 s[8:9], 0
	v_mov_b32_e32 v4, 0
.LBB3_64:                               ; =>This Inner Loop Header: Depth=1
	global_load_ushort v6, v[2:3], off glc
	s_waitcnt vmcnt(0)
	v_cmp_ne_u16_sdwa s[10:11], v6, v4 src0_sel:BYTE_1 src1_sel:DWORD
	s_or_b64 s[8:9], s[10:11], s[8:9]
	v_lshrrev_b16_e32 v26, 8, v6
	s_andn2_b64 exec, exec, s[8:9]
	s_cbranch_execnz .LBB3_64
; %bb.65:
	s_or_b64 exec, exec, s[8:9]
.LBB3_66:
	s_or_b64 exec, exec, s[2:3]
	v_lshlrev_b64 v[3:4], v5, -1
	v_cmp_eq_u16_e32 vcc, 2, v26
	v_and_b32_e32 v35, 63, v5
	v_and_b32_e32 v2, vcc_hi, v4
	v_and_b32_e32 v28, vcc_lo, v3
	v_cmp_ne_u32_e32 vcc, 63, v35
	v_addc_co_u32_e32 v27, vcc, 0, v5, vcc
	v_lshlrev_b32_e32 v27, 2, v27
	v_and_b32_e32 v29, 0xff, v6
	ds_bpermute_b32 v30, v27, v29
	v_or_b32_e32 v2, 0x80000000, v2
	v_ffbl_b32_e32 v2, v2
	v_add_u32_e32 v2, 32, v2
	v_ffbl_b32_e32 v28, v28
	v_min_u32_e32 v2, v28, v2
	v_add_u32_e32 v28, 1, v5
	s_waitcnt lgkmcnt(0)
	v_mul_lo_u16_e32 v30, v6, v30
	v_and_b32_e32 v31, 0xff, v30
	v_cmp_le_u32_e32 vcc, v28, v2
	v_cmp_gt_u32_e64 s[2:3], 62, v35
	v_cndmask_b32_e32 v31, v29, v31, vcc
	v_cndmask_b32_e64 v29, 0, 2, s[2:3]
	v_add_lshl_u32 v29, v29, v5, 2
	ds_bpermute_b32 v32, v29, v31
	v_cndmask_b32_e32 v33, v6, v30, vcc
	v_add_u32_e32 v30, 2, v5
	v_cmp_le_u32_e64 s[2:3], v30, v2
	v_cmp_gt_u32_e64 s[8:9], 60, v35
	s_waitcnt lgkmcnt(0)
	v_mul_lo_u16_e32 v32, v33, v32
	v_and_b32_e32 v34, 0xff, v32
	v_cndmask_b32_e64 v34, v31, v34, s[2:3]
	v_cndmask_b32_e64 v31, 0, 4, s[8:9]
	v_add_lshl_u32 v31, v31, v5, 2
	ds_bpermute_b32 v36, v31, v34
	v_cndmask_b32_e64 v37, v33, v32, s[2:3]
	v_add_u32_e32 v32, 4, v5
	v_cmp_le_u32_e64 s[8:9], v32, v2
	v_cmp_gt_u32_e64 s[10:11], 56, v35
	s_waitcnt lgkmcnt(0)
	v_mul_lo_u16_e32 v36, v37, v36
	v_and_b32_e32 v33, 0xff, v36
	v_cndmask_b32_e64 v38, v34, v33, s[8:9]
	v_cndmask_b32_e64 v33, 0, 8, s[10:11]
	v_add_lshl_u32 v33, v33, v5, 2
	ds_bpermute_b32 v39, v33, v38
	v_cndmask_b32_e64 v36, v37, v36, s[8:9]
	s_or_b64 s[10:11], vcc, s[2:3]
	v_add_u32_e32 v34, 8, v5
	v_cmp_gt_u32_e64 s[2:3], 48, v35
	s_waitcnt lgkmcnt(0)
	v_mul_lo_u16_e32 v37, v36, v39
	v_and_b32_e32 v39, 0xff, v37
	v_cmp_le_u32_e32 vcc, v34, v2
	v_cndmask_b32_e64 v35, 0, 16, s[2:3]
	v_cndmask_b32_e32 v38, v38, v39, vcc
	v_add_lshl_u32 v35, v35, v5, 2
	ds_bpermute_b32 v39, v35, v38
	v_cndmask_b32_e32 v36, v36, v37, vcc
	s_or_b64 s[2:3], s[8:9], s[10:11]
	v_add_u32_e32 v37, 16, v5
	s_or_b64 s[2:3], vcc, s[2:3]
	s_waitcnt lgkmcnt(0)
	v_mul_lo_u16_e32 v40, v36, v39
	v_and_b32_e32 v39, 0xff, v40
	v_cmp_le_u32_e32 vcc, v37, v2
	v_cndmask_b32_e32 v39, v38, v39, vcc
	v_mov_b32_e32 v38, 0x80
	v_lshl_or_b32 v38, v5, 2, v38
	ds_bpermute_b32 v41, v38, v39
	v_add_u32_e32 v39, 32, v5
	s_or_b64 s[2:3], vcc, s[2:3]
	v_cndmask_b32_e32 v5, v36, v40, vcc
	v_cmp_le_u32_e32 vcc, v39, v2
	s_waitcnt lgkmcnt(0)
	v_cndmask_b32_e32 v2, 1, v41, vcc
	v_mul_lo_u16_e32 v2, v5, v2
	s_or_b64 vcc, vcc, s[2:3]
	v_cndmask_b32_e32 v5, v6, v2, vcc
	v_mov_b32_e32 v2, 0
	v_mov_b32_e32 v40, 2
	s_branch .LBB3_70
.LBB3_67:                               ;   in Loop: Header=BB3_70 Depth=1
	s_or_b64 exec, exec, s[8:9]
.LBB3_68:                               ;   in Loop: Header=BB3_70 Depth=1
	s_or_b64 exec, exec, s[2:3]
	v_and_b32_e32 v42, 0xff, v41
	v_cmp_eq_u16_e32 vcc, 2, v26
	ds_bpermute_b32 v43, v27, v42
	v_and_b32_e32 v5, vcc_hi, v4
	v_or_b32_e32 v5, 0x80000000, v5
	v_and_b32_e32 v6, vcc_lo, v3
	v_ffbl_b32_e32 v5, v5
	v_add_u32_e32 v5, 32, v5
	v_ffbl_b32_e32 v6, v6
	v_min_u32_e32 v5, v6, v5
	s_waitcnt lgkmcnt(0)
	v_mul_lo_u16_e32 v6, v41, v43
	v_and_b32_e32 v43, 0xff, v6
	v_cmp_le_u32_e32 vcc, v28, v5
	v_cndmask_b32_e32 v42, v42, v43, vcc
	ds_bpermute_b32 v43, v29, v42
	v_cndmask_b32_e32 v6, v41, v6, vcc
	v_cmp_le_u32_e64 s[2:3], v30, v5
	v_cmp_le_u32_e64 s[8:9], v32, v5
	;; [unrolled: 1-line block ×3, first 2 shown]
	s_waitcnt lgkmcnt(0)
	v_mul_lo_u16_e32 v43, v6, v43
	v_and_b32_e32 v44, 0xff, v43
	v_cndmask_b32_e64 v42, v42, v44, s[2:3]
	ds_bpermute_b32 v44, v31, v42
	v_cndmask_b32_e64 v6, v6, v43, s[2:3]
	s_or_b64 s[2:3], vcc, s[2:3]
	v_cmp_le_u32_e32 vcc, v37, v5
	s_or_b64 s[2:3], s[8:9], s[2:3]
	s_waitcnt lgkmcnt(0)
	v_mul_lo_u16_e32 v43, v6, v44
	v_and_b32_e32 v44, 0xff, v43
	v_cndmask_b32_e64 v42, v42, v44, s[8:9]
	ds_bpermute_b32 v44, v33, v42
	v_cndmask_b32_e64 v6, v6, v43, s[8:9]
	s_or_b64 s[2:3], s[10:11], s[2:3]
	s_or_b64 s[2:3], vcc, s[2:3]
	v_subrev_u32_e32 v1, 64, v1
	s_waitcnt lgkmcnt(0)
	v_mul_lo_u16_e32 v43, v6, v44
	v_and_b32_e32 v44, 0xff, v43
	v_cndmask_b32_e64 v42, v42, v44, s[10:11]
	ds_bpermute_b32 v44, v35, v42
	v_cndmask_b32_e64 v6, v6, v43, s[10:11]
	s_waitcnt lgkmcnt(0)
	v_mul_lo_u16_e32 v43, v6, v44
	v_and_b32_e32 v44, 0xff, v43
	v_cndmask_b32_e32 v42, v42, v44, vcc
	ds_bpermute_b32 v42, v38, v42
	v_cndmask_b32_e32 v6, v6, v43, vcc
	v_cmp_le_u32_e32 vcc, v39, v5
	s_waitcnt lgkmcnt(0)
	v_cndmask_b32_e32 v5, 1, v42, vcc
	v_mul_lo_u16_e32 v5, v6, v5
	s_or_b64 vcc, vcc, s[2:3]
	v_cndmask_b32_e32 v5, v41, v5, vcc
	v_mul_lo_u16_e32 v5, v5, v36
	s_mov_b64 s[2:3], 0
.LBB3_69:                               ;   in Loop: Header=BB3_70 Depth=1
	s_and_b64 vcc, exec, s[2:3]
	s_cbranch_vccnz .LBB3_75
.LBB3_70:                               ; =>This Loop Header: Depth=1
                                        ;     Child Loop BB3_73 Depth 2
	v_cmp_ne_u16_sdwa s[2:3], v26, v40 src0_sel:BYTE_0 src1_sel:DWORD
	v_mov_b32_e32 v36, v5
	s_cmp_lg_u64 s[2:3], exec
	s_mov_b64 s[2:3], -1
                                        ; implicit-def: $vgpr5
                                        ; implicit-def: $vgpr26
	s_cbranch_scc1 .LBB3_69
; %bb.71:                               ;   in Loop: Header=BB3_70 Depth=1
	v_lshlrev_b64 v[5:6], 1, v[1:2]
	v_mov_b32_e32 v26, s13
	v_add_co_u32_e32 v5, vcc, s12, v5
	v_addc_co_u32_e32 v6, vcc, v26, v6, vcc
	global_load_ushort v41, v[5:6], off glc
	s_waitcnt vmcnt(0)
	v_lshrrev_b16_e32 v26, 8, v41
	v_cmp_eq_u16_e32 vcc, 0, v26
	s_and_saveexec_b64 s[2:3], vcc
	s_cbranch_execz .LBB3_68
; %bb.72:                               ;   in Loop: Header=BB3_70 Depth=1
	s_mov_b64 s[8:9], 0
.LBB3_73:                               ;   Parent Loop BB3_70 Depth=1
                                        ; =>  This Inner Loop Header: Depth=2
	global_load_ushort v41, v[5:6], off glc
	s_waitcnt vmcnt(0)
	v_lshrrev_b16_e32 v26, 8, v41
	v_cmp_ne_u16_e32 vcc, 0, v26
	s_or_b64 s[8:9], vcc, s[8:9]
	s_andn2_b64 exec, exec, s[8:9]
	s_cbranch_execnz .LBB3_73
	s_branch .LBB3_67
.LBB3_74:
                                        ; implicit-def: $vgpr1_vgpr2_vgpr3_vgpr4_vgpr5_vgpr6
	s_load_dwordx4 s[8:11], s[4:5], 0x30
	s_cbranch_execnz .LBB3_80
	s_branch .LBB3_91
.LBB3_75:
	s_and_saveexec_b64 s[2:3], s[0:1]
	s_cbranch_execz .LBB3_77
; %bb.76:
	s_add_i32 s8, s6, 64
	s_mov_b32 s9, 0
	s_lshl_b64 s[8:9], s[8:9], 1
	v_mul_lo_u16_e32 v1, v36, v25
	s_add_u32 s8, s12, s8
	s_movk_i32 s6, 0x200
	s_addc_u32 s9, s13, s9
	v_mov_b32_e32 v2, 0
	v_or_b32_sdwa v1, v1, s6 dst_sel:DWORD dst_unused:UNUSED_PAD src0_sel:BYTE_0 src1_sel:DWORD
	global_store_short v2, v1, s[8:9]
.LBB3_77:
	s_or_b64 exec, exec, s[2:3]
	v_cmp_eq_u32_e32 vcc, 0, v0
	s_and_b64 exec, exec, vcc
; %bb.78:
	v_mov_b32_e32 v1, 0
	ds_write_b8 v1, v36 offset:3
.LBB3_79:
	s_or_b64 exec, exec, s[18:19]
	v_mov_b32_e32 v1, 0
	s_waitcnt vmcnt(0) lgkmcnt(0)
	s_barrier
	ds_read_u8 v1, v1 offset:3
	v_cndmask_b32_e64 v2, v24, v23, s[0:1]
	v_cmp_ne_u32_e32 vcc, 0, v0
	v_cndmask_b32_e32 v2, 1, v2, vcc
	v_mul_lo_u16_e32 v2, v2, v7
	s_waitcnt lgkmcnt(0)
	v_mul_lo_u16_e32 v1, v2, v1
	v_mul_lo_u16_e32 v2, v1, v17
	v_mul_lo_u16_sdwa v3, v2, v7 dst_sel:DWORD dst_unused:UNUSED_PAD src0_sel:DWORD src1_sel:WORD_1
	v_mul_lo_u16_sdwa v4, v3, v7 dst_sel:DWORD dst_unused:UNUSED_PAD src0_sel:DWORD src1_sel:BYTE_3
	v_mul_lo_u16_e32 v5, v4, v8
	v_mul_lo_u16_e32 v6, v5, v18
	v_mul_lo_u16_sdwa v17, v6, v8 dst_sel:DWORD dst_unused:UNUSED_PAD src0_sel:DWORD src1_sel:WORD_1
	v_mul_lo_u16_sdwa v18, v17, v8 dst_sel:DWORD dst_unused:UNUSED_PAD src0_sel:DWORD src1_sel:BYTE_3
	;; [unrolled: 4-line block ×3, first 2 shown]
	v_mul_lo_u16_e32 v26, v25, v10
	v_lshlrev_b16_e32 v2, 8, v2
	v_mul_lo_u16_e32 v20, v26, v20
	v_or_b32_sdwa v1, v1, v2 dst_sel:DWORD dst_unused:UNUSED_PAD src0_sel:BYTE_0 src1_sel:DWORD
	v_lshlrev_b16_e32 v2, 8, v4
	v_mul_lo_u16_sdwa v27, v20, v10 dst_sel:DWORD dst_unused:UNUSED_PAD src0_sel:DWORD src1_sel:WORD_1
	v_or_b32_sdwa v2, v3, v2 dst_sel:WORD_1 dst_unused:UNUSED_PAD src0_sel:BYTE_0 src1_sel:DWORD
	v_mul_lo_u16_sdwa v28, v27, v10 dst_sel:DWORD dst_unused:UNUSED_PAD src0_sel:DWORD src1_sel:BYTE_3
	v_or_b32_sdwa v1, v1, v2 dst_sel:DWORD dst_unused:UNUSED_PAD src0_sel:WORD_0 src1_sel:DWORD
	v_lshlrev_b16_e32 v2, 8, v6
	v_lshlrev_b16_e32 v3, 8, v18
	v_mul_lo_u16_e32 v29, v28, v11
	v_or_b32_sdwa v2, v5, v2 dst_sel:DWORD dst_unused:UNUSED_PAD src0_sel:BYTE_0 src1_sel:DWORD
	v_or_b32_sdwa v3, v17, v3 dst_sel:WORD_1 dst_unused:UNUSED_PAD src0_sel:BYTE_0 src1_sel:DWORD
	v_mul_lo_u16_e32 v21, v29, v21
	v_or_b32_sdwa v2, v2, v3 dst_sel:DWORD dst_unused:UNUSED_PAD src0_sel:WORD_0 src1_sel:DWORD
	v_lshlrev_b16_e32 v3, 8, v19
	v_lshlrev_b16_e32 v4, 8, v25
	v_mul_lo_u16_sdwa v30, v21, v11 dst_sel:DWORD dst_unused:UNUSED_PAD src0_sel:DWORD src1_sel:WORD_1
	v_or_b32_sdwa v3, v23, v3 dst_sel:DWORD dst_unused:UNUSED_PAD src0_sel:BYTE_0 src1_sel:DWORD
	v_or_b32_sdwa v4, v24, v4 dst_sel:WORD_1 dst_unused:UNUSED_PAD src0_sel:BYTE_0 src1_sel:DWORD
	v_mul_lo_u16_sdwa v31, v30, v11 dst_sel:DWORD dst_unused:UNUSED_PAD src0_sel:DWORD src1_sel:BYTE_3
	v_or_b32_sdwa v3, v3, v4 dst_sel:DWORD dst_unused:UNUSED_PAD src0_sel:WORD_0 src1_sel:DWORD
	v_lshlrev_b16_e32 v4, 8, v20
	v_lshlrev_b16_e32 v5, 8, v28
	v_mul_lo_u16_e32 v32, v31, v12
	v_or_b32_sdwa v4, v26, v4 dst_sel:DWORD dst_unused:UNUSED_PAD src0_sel:BYTE_0 src1_sel:DWORD
	v_or_b32_sdwa v5, v27, v5 dst_sel:WORD_1 dst_unused:UNUSED_PAD src0_sel:BYTE_0 src1_sel:DWORD
	v_mul_lo_u16_e32 v22, v32, v22
	v_or_b32_sdwa v4, v4, v5 dst_sel:DWORD dst_unused:UNUSED_PAD src0_sel:WORD_0 src1_sel:DWORD
	v_lshlrev_b16_e32 v5, 8, v21
	v_lshlrev_b16_e32 v6, 8, v31
	v_mul_lo_u16_sdwa v33, v22, v12 dst_sel:DWORD dst_unused:UNUSED_PAD src0_sel:DWORD src1_sel:WORD_1
	v_or_b32_sdwa v5, v29, v5 dst_sel:DWORD dst_unused:UNUSED_PAD src0_sel:BYTE_0 src1_sel:DWORD
	v_or_b32_sdwa v6, v30, v6 dst_sel:WORD_1 dst_unused:UNUSED_PAD src0_sel:BYTE_0 src1_sel:DWORD
	v_mul_lo_u16_sdwa v34, v33, v12 dst_sel:BYTE_1 dst_unused:UNUSED_PAD src0_sel:DWORD src1_sel:BYTE_3
	v_or_b32_sdwa v5, v5, v6 dst_sel:DWORD dst_unused:UNUSED_PAD src0_sel:WORD_0 src1_sel:DWORD
	v_lshlrev_b16_e32 v6, 8, v22
	v_or_b32_sdwa v6, v32, v6 dst_sel:DWORD dst_unused:UNUSED_PAD src0_sel:BYTE_0 src1_sel:DWORD
	v_or_b32_sdwa v17, v33, v34 dst_sel:WORD_1 dst_unused:UNUSED_PAD src0_sel:BYTE_0 src1_sel:DWORD
	v_or_b32_sdwa v6, v6, v17 dst_sel:DWORD dst_unused:UNUSED_PAD src0_sel:WORD_0 src1_sel:DWORD
	s_load_dwordx4 s[8:11], s[4:5], 0x30
	s_branch .LBB3_91
.LBB3_80:
	s_load_dword s0, s[4:5], 0x40
	s_waitcnt lgkmcnt(0)
	s_bitcmp1_b32 s0, 0
	s_cselect_b64 s[2:3], -1, 0
	v_cmp_eq_u32_e64 s[0:1], 0, v0
	s_and_b64 s[18:19], s[0:1], s[2:3]
	s_and_saveexec_b64 s[2:3], s[18:19]
	s_cbranch_execz .LBB3_82
; %bb.81:
	v_mov_b32_e32 v1, 0
	global_load_ubyte v1, v1, s[8:9]
	s_mov_b32 s6, 0x3020104
	s_waitcnt vmcnt(0)
	v_mul_lo_u16_e32 v1, v1, v7
	v_perm_b32 v7, v1, v7, s6
.LBB3_82:
	s_or_b64 exec, exec, s[2:3]
	v_lshrrev_b32_e32 v5, 8, v7
	v_mul_lo_u16_e32 v4, v5, v7
	v_mul_lo_u16_sdwa v4, v4, v7 dst_sel:DWORD dst_unused:UNUSED_PAD src0_sel:DWORD src1_sel:WORD_1
	v_mul_lo_u16_sdwa v4, v4, v7 dst_sel:DWORD dst_unused:UNUSED_PAD src0_sel:DWORD src1_sel:BYTE_3
	v_lshrrev_b32_e32 v2, 8, v8
	v_mul_lo_u16_e32 v4, v4, v8
	v_mul_lo_u16_e32 v4, v4, v2
	v_mul_lo_u16_sdwa v4, v4, v8 dst_sel:DWORD dst_unused:UNUSED_PAD src0_sel:DWORD src1_sel:WORD_1
	v_mul_lo_u16_sdwa v4, v4, v8 dst_sel:DWORD dst_unused:UNUSED_PAD src0_sel:DWORD src1_sel:BYTE_3
	v_mul_lo_u16_e32 v4, v4, v9
	v_lshrrev_b32_e32 v6, 8, v9
	v_mul_lo_u16_e32 v4, v4, v6
	v_mul_lo_u16_sdwa v4, v4, v9 dst_sel:DWORD dst_unused:UNUSED_PAD src0_sel:DWORD src1_sel:WORD_1
	v_mul_lo_u16_sdwa v4, v4, v9 dst_sel:DWORD dst_unused:UNUSED_PAD src0_sel:DWORD src1_sel:BYTE_3
	v_lshrrev_b32_e32 v1, 8, v10
	v_mul_lo_u16_e32 v4, v4, v10
	v_mul_lo_u16_e32 v4, v4, v1
	v_mul_lo_u16_sdwa v4, v4, v10 dst_sel:DWORD dst_unused:UNUSED_PAD src0_sel:DWORD src1_sel:WORD_1
	v_mul_lo_u16_sdwa v4, v4, v10 dst_sel:DWORD dst_unused:UNUSED_PAD src0_sel:DWORD src1_sel:BYTE_3
	v_mul_lo_u16_e32 v17, v4, v11
	v_lshrrev_b32_e32 v4, 8, v11
	v_mul_lo_u16_e32 v17, v17, v4
	v_mul_lo_u16_sdwa v17, v17, v11 dst_sel:DWORD dst_unused:UNUSED_PAD src0_sel:DWORD src1_sel:WORD_1
	v_mul_lo_u16_sdwa v17, v17, v11 dst_sel:DWORD dst_unused:UNUSED_PAD src0_sel:DWORD src1_sel:BYTE_3
	v_lshrrev_b32_e32 v3, 8, v12
	v_mul_lo_u16_e32 v17, v17, v12
	v_mul_lo_u16_e32 v17, v17, v3
	v_mul_lo_u16_sdwa v17, v17, v12 dst_sel:DWORD dst_unused:UNUSED_PAD src0_sel:DWORD src1_sel:WORD_1
	v_mul_lo_u16_sdwa v17, v17, v12 dst_sel:DWORD dst_unused:UNUSED_PAD src0_sel:DWORD src1_sel:BYTE_3
	v_and_b32_e32 v19, 0xff, v17
	v_mbcnt_hi_u32_b32 v16, -1, v16
	v_and_b32_e32 v18, 15, v16
	v_mov_b32_dpp v20, v19 row_shr:1 row_mask:0xf bank_mask:0xf
	v_mul_lo_u16_e32 v20, v17, v20
	v_and_b32_e32 v21, 0xff, v20
	v_cmp_eq_u32_e32 vcc, 0, v18
	v_cndmask_b32_e32 v19, v21, v19, vcc
	v_cndmask_b32_e32 v17, v20, v17, vcc
	v_cmp_lt_u32_e32 vcc, 1, v18
	v_mov_b32_dpp v20, v19 row_shr:2 row_mask:0xf bank_mask:0xf
	v_mul_lo_u16_e32 v20, v17, v20
	v_and_b32_e32 v21, 0xff, v20
	v_cndmask_b32_e32 v19, v19, v21, vcc
	v_cndmask_b32_e32 v17, v17, v20, vcc
	v_cmp_lt_u32_e32 vcc, 3, v18
	v_mov_b32_dpp v20, v19 row_shr:4 row_mask:0xf bank_mask:0xf
	v_mul_lo_u16_e32 v20, v17, v20
	v_and_b32_e32 v21, 0xff, v20
	;; [unrolled: 6-line block ×3, first 2 shown]
	v_cndmask_b32_e32 v18, v19, v21, vcc
	v_cndmask_b32_e32 v17, v17, v20, vcc
	v_and_b32_e32 v20, 16, v16
	v_mov_b32_dpp v19, v18 row_bcast:15 row_mask:0xf bank_mask:0xf
	v_mul_lo_u16_e32 v19, v17, v19
	v_and_b32_e32 v21, 0xff, v19
	v_cmp_eq_u32_e32 vcc, 0, v20
	v_cndmask_b32_e32 v18, v21, v18, vcc
	v_cndmask_b32_e32 v17, v19, v17, vcc
	v_cmp_lt_u32_e32 vcc, 31, v16
	v_mov_b32_dpp v18, v18 row_bcast:31 row_mask:0xf bank_mask:0xf
	v_cndmask_b32_e32 v18, 1, v18, vcc
	v_mul_lo_u16_e32 v17, v17, v18
	v_cmp_eq_u32_e32 vcc, v0, v15
	s_and_saveexec_b64 s[2:3], vcc
; %bb.83:
	ds_write_b8 v14, v17
; %bb.84:
	s_or_b64 exec, exec, s[2:3]
	v_cmp_gt_u32_e32 vcc, 4, v0
	s_waitcnt lgkmcnt(0)
	s_barrier
	s_and_saveexec_b64 s[2:3], vcc
	s_cbranch_execz .LBB3_86
; %bb.85:
	ds_read_u8 v15, v0
	v_and_b32_e32 v18, 3, v16
	v_cmp_eq_u32_e32 vcc, 0, v18
	s_waitcnt lgkmcnt(0)
	v_and_b32_e32 v19, 0xff, v15
	s_nop 1
	v_mov_b32_dpp v20, v19 row_shr:1 row_mask:0xf bank_mask:0xf
	v_mul_lo_u16_e32 v20, v15, v20
	v_cndmask_b32_sdwa v19, v20, v19, vcc dst_sel:DWORD dst_unused:UNUSED_PAD src0_sel:BYTE_0 src1_sel:DWORD
	v_cndmask_b32_e32 v15, v20, v15, vcc
	v_cmp_lt_u32_e32 vcc, 1, v18
	v_mov_b32_dpp v19, v19 row_shr:2 row_mask:0xf bank_mask:0xf
	v_cndmask_b32_e32 v18, 1, v19, vcc
	v_mul_lo_u16_e32 v15, v15, v18
	ds_write_b8 v0, v15
.LBB3_86:
	s_or_b64 exec, exec, s[2:3]
	v_cmp_lt_u32_e32 vcc, 63, v0
	s_waitcnt lgkmcnt(0)
	s_barrier
                                        ; implicit-def: $vgpr15
	s_and_saveexec_b64 s[2:3], vcc
	s_cbranch_execz .LBB3_88
; %bb.87:
	v_add_u32_e32 v14, -1, v14
	ds_read_u8 v15, v14
	s_waitcnt lgkmcnt(0)
	v_mul_lo_u16_e32 v17, v15, v17
.LBB3_88:
	s_or_b64 exec, exec, s[2:3]
	v_subrev_co_u32_e32 v14, vcc, 1, v16
	v_and_b32_e32 v18, 64, v16
	v_cmp_lt_i32_e64 s[2:3], v14, v18
	v_cndmask_b32_e64 v14, v14, v16, s[2:3]
	v_lshlrev_b32_e32 v14, 2, v14
	v_and_b32_e32 v16, 0xff, v17
	ds_bpermute_b32 v14, v14, v16
	s_waitcnt lgkmcnt(0)
	v_cndmask_b32_e32 v14, v14, v15, vcc
	v_cndmask_b32_e64 v14, v14, 1, s[0:1]
	v_mul_lo_u16_e32 v14, v14, v7
	v_mul_lo_u16_e32 v5, v14, v5
	v_mul_lo_u16_sdwa v15, v5, v7 dst_sel:DWORD dst_unused:UNUSED_PAD src0_sel:DWORD src1_sel:WORD_1
	v_mul_lo_u16_sdwa v7, v15, v7 dst_sel:DWORD dst_unused:UNUSED_PAD src0_sel:DWORD src1_sel:BYTE_3
	v_mul_lo_u16_e32 v16, v7, v8
	v_mul_lo_u16_e32 v2, v16, v2
	v_mul_lo_u16_sdwa v17, v2, v8 dst_sel:DWORD dst_unused:UNUSED_PAD src0_sel:DWORD src1_sel:WORD_1
	v_mul_lo_u16_sdwa v8, v17, v8 dst_sel:DWORD dst_unused:UNUSED_PAD src0_sel:DWORD src1_sel:BYTE_3
	;; [unrolled: 4-line block ×3, first 2 shown]
	v_mul_lo_u16_e32 v20, v9, v10
	v_mul_lo_u16_e32 v21, v20, v1
	v_mul_lo_u16_sdwa v22, v21, v10 dst_sel:DWORD dst_unused:UNUSED_PAD src0_sel:DWORD src1_sel:WORD_1
	v_lshlrev_b16_e32 v1, 8, v5
	v_lshlrev_b16_e32 v5, 8, v7
	v_mul_lo_u16_sdwa v10, v22, v10 dst_sel:DWORD dst_unused:UNUSED_PAD src0_sel:DWORD src1_sel:BYTE_3
	v_or_b32_sdwa v1, v14, v1 dst_sel:DWORD dst_unused:UNUSED_PAD src0_sel:BYTE_0 src1_sel:DWORD
	v_or_b32_sdwa v5, v15, v5 dst_sel:WORD_1 dst_unused:UNUSED_PAD src0_sel:BYTE_0 src1_sel:DWORD
	v_lshlrev_b16_e32 v2, 8, v2
	v_lshlrev_b16_e32 v7, 8, v8
	v_or_b32_sdwa v2, v16, v2 dst_sel:DWORD dst_unused:UNUSED_PAD src0_sel:BYTE_0 src1_sel:DWORD
	v_or_b32_sdwa v7, v17, v7 dst_sel:WORD_1 dst_unused:UNUSED_PAD src0_sel:BYTE_0 src1_sel:DWORD
	v_or_b32_sdwa v1, v1, v5 dst_sel:DWORD dst_unused:UNUSED_PAD src0_sel:WORD_0 src1_sel:DWORD
	v_mul_lo_u16_e32 v5, v10, v11
	v_or_b32_sdwa v2, v2, v7 dst_sel:DWORD dst_unused:UNUSED_PAD src0_sel:WORD_0 src1_sel:DWORD
	v_mul_lo_u16_e32 v7, v5, v4
	v_mul_lo_u16_sdwa v8, v7, v11 dst_sel:DWORD dst_unused:UNUSED_PAD src0_sel:DWORD src1_sel:WORD_1
	v_mul_lo_u16_sdwa v11, v8, v11 dst_sel:DWORD dst_unused:UNUSED_PAD src0_sel:DWORD src1_sel:BYTE_3
	v_mul_lo_u16_e32 v14, v11, v12
	v_mul_lo_u16_e32 v15, v14, v3
	v_lshlrev_b16_e32 v3, 8, v6
	v_lshlrev_b16_e32 v4, 8, v9
	v_or_b32_sdwa v3, v18, v3 dst_sel:DWORD dst_unused:UNUSED_PAD src0_sel:BYTE_0 src1_sel:DWORD
	v_or_b32_sdwa v4, v19, v4 dst_sel:WORD_1 dst_unused:UNUSED_PAD src0_sel:BYTE_0 src1_sel:DWORD
	v_or_b32_sdwa v3, v3, v4 dst_sel:DWORD dst_unused:UNUSED_PAD src0_sel:WORD_0 src1_sel:DWORD
	v_lshlrev_b16_e32 v4, 8, v21
	v_lshlrev_b16_e32 v6, 8, v10
	v_or_b32_sdwa v4, v20, v4 dst_sel:DWORD dst_unused:UNUSED_PAD src0_sel:BYTE_0 src1_sel:DWORD
	v_or_b32_sdwa v6, v22, v6 dst_sel:WORD_1 dst_unused:UNUSED_PAD src0_sel:BYTE_0 src1_sel:DWORD
	v_or_b32_sdwa v4, v4, v6 dst_sel:DWORD dst_unused:UNUSED_PAD src0_sel:WORD_0 src1_sel:DWORD
	v_lshlrev_b16_e32 v6, 8, v7
	v_or_b32_sdwa v5, v5, v6 dst_sel:DWORD dst_unused:UNUSED_PAD src0_sel:BYTE_0 src1_sel:DWORD
	v_lshlrev_b16_e32 v6, 8, v11
	v_mul_lo_u16_sdwa v16, v15, v12 dst_sel:DWORD dst_unused:UNUSED_PAD src0_sel:DWORD src1_sel:WORD_1
	v_or_b32_sdwa v6, v8, v6 dst_sel:WORD_1 dst_unused:UNUSED_PAD src0_sel:BYTE_0 src1_sel:DWORD
	v_mul_lo_u16_sdwa v12, v16, v12 dst_sel:BYTE_1 dst_unused:UNUSED_PAD src0_sel:DWORD src1_sel:BYTE_3
	v_or_b32_sdwa v5, v5, v6 dst_sel:DWORD dst_unused:UNUSED_PAD src0_sel:WORD_0 src1_sel:DWORD
	v_lshlrev_b16_e32 v6, 8, v15
	v_or_b32_sdwa v6, v14, v6 dst_sel:DWORD dst_unused:UNUSED_PAD src0_sel:BYTE_0 src1_sel:DWORD
	v_or_b32_sdwa v7, v16, v12 dst_sel:WORD_1 dst_unused:UNUSED_PAD src0_sel:BYTE_0 src1_sel:DWORD
	v_or_b32_sdwa v6, v6, v7 dst_sel:DWORD dst_unused:UNUSED_PAD src0_sel:WORD_0 src1_sel:DWORD
	s_and_saveexec_b64 s[2:3], s[0:1]
	s_cbranch_execz .LBB3_90
; %bb.89:
	v_mov_b32_e32 v7, 0
	ds_read_u8 v8, v7 offset:3
	s_waitcnt lgkmcnt(0)
	v_or_b32_e32 v8, 0x200, v8
	global_store_short v7, v8, s[12:13] offset:128
.LBB3_90:
	s_or_b64 exec, exec, s[2:3]
.LBB3_91:
	s_add_u32 s0, s14, s21
	s_addc_u32 s1, s15, 0
	s_mov_b64 s[2:3], -1
	s_and_b64 vcc, exec, s[16:17]
	s_waitcnt vmcnt(0) lgkmcnt(0)
	s_barrier
	s_cbranch_vccz .LBB3_93
; %bb.92:
	ds_write2_b64 v13, v[1:2], v[3:4] offset1:1
	ds_write_b64 v13, v[5:6] offset:16
	s_waitcnt lgkmcnt(0)
	s_barrier
	ds_read_u8 v7, v0
	ds_read_u8 v8, v0 offset:256
	ds_read_u8 v9, v0 offset:512
	;; [unrolled: 1-line block ×23, first 2 shown]
	v_mov_b32_e32 v32, s1
	v_add_co_u32_e32 v33, vcc, s0, v0
	v_addc_co_u32_e32 v32, vcc, 0, v32, vcc
	s_waitcnt lgkmcnt(14)
	global_store_byte v0, v7, s[0:1]
	global_store_byte v0, v8, s[0:1] offset:256
	global_store_byte v0, v9, s[0:1] offset:512
	;; [unrolled: 1-line block ×9, first 2 shown]
	s_waitcnt lgkmcnt(13)
	global_store_byte v0, v18, s[0:1] offset:2560
	s_waitcnt lgkmcnt(12)
	global_store_byte v0, v19, s[0:1] offset:2816
	;; [unrolled: 2-line block ×6, first 2 shown]
	v_add_co_u32_e32 v7, vcc, 0x1000, v33
	v_addc_co_u32_e32 v8, vcc, 0, v32, vcc
	s_waitcnt lgkmcnt(7)
	global_store_byte v[7:8], v24, off
	s_waitcnt lgkmcnt(6)
	global_store_byte v[7:8], v25, off offset:256
	s_waitcnt lgkmcnt(5)
	global_store_byte v[7:8], v26, off offset:512
	;; [unrolled: 2-line block ×7, first 2 shown]
	s_mov_b64 s[2:3], 0
.LBB3_93:
	s_andn2_b64 vcc, exec, s[2:3]
	s_cbranch_vccnz .LBB3_150
; %bb.94:
	ds_write2_b64 v13, v[1:2], v[3:4] offset1:1
	ds_write_b64 v13, v[5:6] offset:16
	s_waitcnt vmcnt(0) lgkmcnt(0)
	s_barrier
	ds_read_u8 v5, v0
	ds_read_u8 v4, v0 offset:256
	ds_read_u8 v7, v0 offset:512
	;; [unrolled: 1-line block ×23, first 2 shown]
	v_mov_b32_e32 v3, s1
	v_add_co_u32_e32 v2, vcc, s0, v0
	v_addc_co_u32_e32 v3, vcc, 0, v3, vcc
	v_mov_b32_e32 v1, 0
	v_cmp_gt_u32_e32 vcc, s7, v0
	s_and_saveexec_b64 s[0:1], vcc
	s_cbranch_execz .LBB3_96
; %bb.95:
	s_waitcnt lgkmcnt(14)
	global_store_byte v[2:3], v5, off
.LBB3_96:
	s_or_b64 exec, exec, s[0:1]
	v_or_b32_e32 v29, 0x100, v0
	v_cmp_gt_u32_e32 vcc, s7, v29
	s_and_saveexec_b64 s[0:1], vcc
	s_cbranch_execz .LBB3_98
; %bb.97:
	s_waitcnt lgkmcnt(14)
	global_store_byte v[2:3], v4, off offset:256
.LBB3_98:
	s_or_b64 exec, exec, s[0:1]
	v_or_b32_e32 v29, 0x200, v0
	v_cmp_gt_u32_e32 vcc, s7, v29
	s_and_saveexec_b64 s[0:1], vcc
	s_cbranch_execz .LBB3_100
; %bb.99:
	s_waitcnt lgkmcnt(14)
	global_store_byte v[2:3], v7, off offset:512
.LBB3_100:
	;; [unrolled: 9-line block ×15, first 2 shown]
	s_or_b64 exec, exec, s[0:1]
	v_or_b32_e32 v29, 0x1000, v0
	v_cmp_gt_u32_e32 vcc, s7, v29
	s_and_saveexec_b64 s[0:1], vcc
	s_cbranch_execz .LBB3_128
; %bb.127:
	v_add_co_u32_e32 v29, vcc, 0x1000, v2
	v_addc_co_u32_e32 v30, vcc, 0, v3, vcc
	s_waitcnt lgkmcnt(7)
	global_store_byte v[29:30], v24, off
.LBB3_128:
	s_or_b64 exec, exec, s[0:1]
	v_or_b32_e32 v29, 0x1100, v0
	v_cmp_gt_u32_e32 vcc, s7, v29
	s_and_saveexec_b64 s[0:1], vcc
	s_cbranch_execz .LBB3_130
; %bb.129:
	v_add_co_u32_e32 v29, vcc, 0x1000, v2
	v_addc_co_u32_e32 v30, vcc, 0, v3, vcc
	s_waitcnt lgkmcnt(6)
	global_store_byte v[29:30], v26, off offset:256
.LBB3_130:
	s_or_b64 exec, exec, s[0:1]
	v_or_b32_e32 v29, 0x1200, v0
	v_cmp_gt_u32_e32 vcc, s7, v29
	s_and_saveexec_b64 s[0:1], vcc
	s_cbranch_execz .LBB3_132
; %bb.131:
	v_add_co_u32_e32 v29, vcc, 0x1000, v2
	v_addc_co_u32_e32 v30, vcc, 0, v3, vcc
	s_waitcnt lgkmcnt(5)
	global_store_byte v[29:30], v27, off offset:512
.LBB3_132:
	;; [unrolled: 11-line block ×7, first 2 shown]
	s_or_b64 exec, exec, s[0:1]
	s_load_dword s0, s[4:5], 0x40
	s_waitcnt lgkmcnt(0)
	s_bfe_u32 s0, s0, 0x10008
	s_cmp_eq_u32 s0, 0
	s_cbranch_scc1 .LBB3_150
; %bb.143:
	s_add_u32 s0, s7, -1
	s_addc_u32 s1, s20, -1
	s_mul_i32 s5, s1, 0xaaaaaaab
	s_mul_hi_u32 s6, s0, 0xaaaaaaab
	s_mul_hi_u32 s4, s1, 0xaaaaaaab
	s_add_u32 s5, s5, s6
	s_mul_i32 s3, s0, 0xaaaaaaaa
	s_addc_u32 s4, s4, 0
	s_mul_hi_u32 s2, s0, 0xaaaaaaaa
	s_add_u32 s3, s3, s5
	s_addc_u32 s2, s2, 0
	s_add_u32 s2, s4, s2
	s_addc_u32 s3, 0, 0
	s_mul_i32 s5, s1, 0xaaaaaaaa
	s_mul_hi_u32 s4, s1, 0xaaaaaaaa
	s_add_u32 s2, s5, s2
	s_addc_u32 s3, s4, s3
	s_lshr_b64 s[2:3], s[2:3], 4
	v_cmp_eq_u64_e32 vcc, s[2:3], v[0:1]
	s_and_saveexec_b64 s[2:3], vcc
	s_cbranch_execz .LBB3_150
; %bb.144:
	v_mul_hi_u32_u24_e32 v1, 24, v0
	v_mov_b32_e32 v2, s1
	v_sub_co_u32_e32 v0, vcc, s0, v13
	v_subb_co_u32_e32 v1, vcc, v2, v1, vcc
	v_cmp_lt_i64_e32 vcc, 11, v[0:1]
	s_mov_b64 s[0:1], 0
	s_mov_b64 s[8:9], 0
	;; [unrolled: 1-line block ×4, first 2 shown]
	s_and_saveexec_b64 s[2:3], vcc
	s_xor_b64 s[2:3], exec, s[2:3]
	s_cbranch_execnz .LBB3_151
; %bb.145:
	s_andn2_saveexec_b64 s[2:3], s[2:3]
	s_cbranch_execnz .LBB3_196
.LBB3_146:
	s_or_b64 exec, exec, s[2:3]
	s_and_saveexec_b64 s[2:3], s[8:9]
	s_cbranch_execnz .LBB3_213
.LBB3_147:
	s_or_b64 exec, exec, s[2:3]
	s_and_saveexec_b64 s[2:3], s[6:7]
	s_cbranch_execnz .LBB3_214
.LBB3_148:
	s_or_b64 exec, exec, s[2:3]
	s_and_saveexec_b64 s[2:3], s[4:5]
	s_xor_b64 s[2:3], exec, s[2:3]
	s_cbranch_execnz .LBB3_215
.LBB3_149:
	s_or_b64 exec, exec, s[2:3]
	s_and_b64 exec, exec, s[0:1]
	s_cbranch_execnz .LBB3_216
.LBB3_150:
	s_endpgm
.LBB3_151:
	v_cmp_lt_i64_e32 vcc, 17, v[0:1]
	s_and_saveexec_b64 s[12:13], vcc
	s_xor_b64 s[12:13], exec, s[12:13]
	s_cbranch_execz .LBB3_173
; %bb.152:
	v_cmp_lt_i64_e32 vcc, 20, v[0:1]
	s_and_saveexec_b64 s[14:15], vcc
	s_xor_b64 s[14:15], exec, s[14:15]
	s_cbranch_execz .LBB3_162
; %bb.153:
	v_cmp_lt_i64_e32 vcc, 21, v[0:1]
	s_mov_b64 s[16:17], 0
	s_and_saveexec_b64 s[4:5], vcc
	s_xor_b64 s[4:5], exec, s[4:5]
	s_cbranch_execz .LBB3_159
; %bb.154:
	v_cmp_lt_i64_e32 vcc, 22, v[0:1]
	s_and_saveexec_b64 s[16:17], vcc
	s_xor_b64 s[16:17], exec, s[16:17]
	s_cbranch_execz .LBB3_156
; %bb.155:
	v_mov_b32_e32 v2, 0
	global_store_byte v2, v28, s[10:11]
.LBB3_156:
	s_or_saveexec_b64 s[16:17], s[16:17]
	s_mov_b64 s[18:19], 0
	s_xor_b64 exec, exec, s[16:17]
; %bb.157:
	s_mov_b64 s[18:19], exec
; %bb.158:
	s_or_b64 exec, exec, s[16:17]
	s_and_b64 s[16:17], s[18:19], exec
.LBB3_159:
	s_andn2_saveexec_b64 s[4:5], s[4:5]
; %bb.160:
	s_mov_b64 s[6:7], exec
; %bb.161:
	s_or_b64 exec, exec, s[4:5]
	s_and_b64 s[4:5], s[16:17], exec
	s_and_b64 s[6:7], s[6:7], exec
                                        ; implicit-def: $vgpr27
                                        ; implicit-def: $vgpr25
.LBB3_162:
	s_andn2_saveexec_b64 s[14:15], s[14:15]
	s_cbranch_execz .LBB3_172
; %bb.163:
	v_cmp_lt_i64_e32 vcc, 18, v[0:1]
	s_mov_b64 s[16:17], 0
	s_and_saveexec_b64 s[8:9], vcc
	s_xor_b64 s[8:9], exec, s[8:9]
	s_cbranch_execz .LBB3_169
; %bb.164:
	v_cmp_lt_i64_e32 vcc, 19, v[0:1]
	s_and_saveexec_b64 s[18:19], vcc
	s_xor_b64 s[18:19], exec, s[18:19]
; %bb.165:
	s_mov_b64 s[16:17], exec
                                        ; implicit-def: $vgpr25
; %bb.166:
	s_andn2_saveexec_b64 s[18:19], s[18:19]
	s_cbranch_execz .LBB3_168
; %bb.167:
	v_mov_b32_e32 v2, 0
	global_store_byte v2, v25, s[10:11]
.LBB3_168:
	s_or_b64 exec, exec, s[18:19]
	s_and_b64 s[16:17], s[16:17], exec
                                        ; implicit-def: $vgpr27
.LBB3_169:
	s_andn2_saveexec_b64 s[8:9], s[8:9]
	s_cbranch_execz .LBB3_171
; %bb.170:
	v_mov_b32_e32 v2, 0
	global_store_byte v2, v27, s[10:11]
.LBB3_171:
	s_or_b64 exec, exec, s[8:9]
	s_and_b64 s[8:9], s[16:17], exec
.LBB3_172:
	s_or_b64 exec, exec, s[14:15]
	s_and_b64 s[4:5], s[4:5], exec
	s_and_b64 s[6:7], s[6:7], exec
	;; [unrolled: 1-line block ×3, first 2 shown]
                                        ; implicit-def: $vgpr18
                                        ; implicit-def: $vgpr16
                                        ; implicit-def: $vgpr17
                                        ; implicit-def: $vgpr21
                                        ; implicit-def: $vgpr24
                                        ; implicit-def: $vgpr26
.LBB3_173:
	s_andn2_saveexec_b64 s[12:13], s[12:13]
	s_cbranch_execz .LBB3_195
; %bb.174:
	v_cmp_lt_i64_e32 vcc, 14, v[0:1]
	s_mov_b64 s[14:15], s[4:5]
	s_and_saveexec_b64 s[16:17], vcc
	s_xor_b64 s[16:17], exec, s[16:17]
	s_cbranch_execz .LBB3_184
; %bb.175:
	v_cmp_lt_i64_e32 vcc, 15, v[0:1]
	s_and_saveexec_b64 s[14:15], vcc
	s_xor_b64 s[14:15], exec, s[14:15]
	s_cbranch_execz .LBB3_181
; %bb.176:
	v_cmp_lt_i64_e32 vcc, 16, v[0:1]
	s_and_saveexec_b64 s[18:19], vcc
	s_xor_b64 s[18:19], exec, s[18:19]
	s_cbranch_execz .LBB3_178
; %bb.177:
	v_mov_b32_e32 v2, 0
	global_store_byte v2, v26, s[10:11]
                                        ; implicit-def: $vgpr24
.LBB3_178:
	s_andn2_saveexec_b64 s[18:19], s[18:19]
	s_cbranch_execz .LBB3_180
; %bb.179:
	v_mov_b32_e32 v2, 0
	global_store_byte v2, v24, s[10:11]
.LBB3_180:
	s_or_b64 exec, exec, s[18:19]
.LBB3_181:
	s_or_saveexec_b64 s[14:15], s[14:15]
	s_mov_b64 s[18:19], s[4:5]
	s_xor_b64 exec, exec, s[14:15]
; %bb.182:
	s_or_b64 s[18:19], s[4:5], exec
; %bb.183:
	s_or_b64 exec, exec, s[14:15]
	s_andn2_b64 s[14:15], s[4:5], exec
	s_and_b64 s[18:19], s[18:19], exec
	s_or_b64 s[14:15], s[14:15], s[18:19]
                                        ; implicit-def: $vgpr17
                                        ; implicit-def: $vgpr21
                                        ; implicit-def: $vgpr16
.LBB3_184:
	s_or_saveexec_b64 s[16:17], s[16:17]
	s_mov_b64 s[18:19], s[6:7]
                                        ; implicit-def: $vgpr11
	s_xor_b64 exec, exec, s[16:17]
	s_cbranch_execz .LBB3_194
; %bb.185:
	v_cmp_lt_i64_e32 vcc, 12, v[0:1]
	s_mov_b64 s[20:21], s[6:7]
	s_mov_b64 s[22:23], s[14:15]
	s_and_saveexec_b64 s[18:19], vcc
	s_xor_b64 s[18:19], exec, s[18:19]
	s_cbranch_execz .LBB3_191
; %bb.186:
	v_cmp_lt_i64_e32 vcc, 13, v[0:1]
	s_mov_b64 s[20:21], s[14:15]
	s_and_saveexec_b64 s[22:23], vcc
	s_xor_b64 s[22:23], exec, s[22:23]
; %bb.187:
	s_or_b64 s[20:21], s[14:15], exec
; %bb.188:
	s_or_saveexec_b64 s[22:23], s[22:23]
	s_mov_b64 s[24:25], s[6:7]
	s_xor_b64 exec, exec, s[22:23]
; %bb.189:
	s_or_b64 s[24:25], s[6:7], exec
; %bb.190:
	s_or_b64 exec, exec, s[22:23]
	s_andn2_b64 s[22:23], s[14:15], exec
	s_and_b64 s[20:21], s[20:21], exec
	s_or_b64 s[22:23], s[22:23], s[20:21]
	s_andn2_b64 s[20:21], s[6:7], exec
	s_and_b64 s[24:25], s[24:25], exec
	s_or_b64 s[20:21], s[20:21], s[24:25]
                                        ; implicit-def: $vgpr21
.LBB3_191:
	s_andn2_saveexec_b64 s[18:19], s[18:19]
; %bb.192:
	s_or_b64 s[20:21], s[20:21], exec
	v_mov_b32_e32 v17, v21
; %bb.193:
	s_or_b64 exec, exec, s[18:19]
	s_andn2_b64 s[14:15], s[14:15], exec
	s_and_b64 s[18:19], s[22:23], exec
	s_or_b64 s[14:15], s[14:15], s[18:19]
	s_andn2_b64 s[18:19], s[6:7], exec
	s_and_b64 s[20:21], s[20:21], exec
	s_or_b64 s[18:19], s[18:19], s[20:21]
	v_mov_b32_e32 v18, v16
	v_mov_b32_e32 v11, v17
.LBB3_194:
	s_or_b64 exec, exec, s[16:17]
	s_andn2_b64 s[4:5], s[4:5], exec
	s_and_b64 s[14:15], s[14:15], exec
	s_or_b64 s[4:5], s[4:5], s[14:15]
	s_andn2_b64 s[6:7], s[6:7], exec
	s_and_b64 s[14:15], s[18:19], exec
	s_or_b64 s[6:7], s[6:7], s[14:15]
	v_mov_b32_e32 v12, v18
.LBB3_195:
	s_or_b64 exec, exec, s[12:13]
	s_and_b64 s[4:5], s[4:5], exec
	s_and_b64 s[6:7], s[6:7], exec
	;; [unrolled: 1-line block ×3, first 2 shown]
                                        ; implicit-def: $vgpr19
                                        ; implicit-def: $vgpr23
                                        ; implicit-def: $vgpr20
                                        ; implicit-def: $vgpr22
                                        ; implicit-def: $vgpr14
                                        ; implicit-def: $vgpr15
	s_andn2_saveexec_b64 s[2:3], s[2:3]
	s_cbranch_execz .LBB3_146
.LBB3_196:
	v_cmp_lt_i64_e32 vcc, 5, v[0:1]
	s_mov_b64 s[14:15], -1
	s_mov_b64 s[12:13], s[8:9]
	s_mov_b64 s[16:17], s[6:7]
	;; [unrolled: 1-line block ×3, first 2 shown]
                                        ; implicit-def: $vgpr10
	s_and_saveexec_b64 s[0:1], vcc
	s_cbranch_execz .LBB3_212
; %bb.197:
	v_cmp_lt_i64_e32 vcc, 8, v[0:1]
	s_mov_b64 s[12:13], s[8:9]
                                        ; implicit-def: $vgpr10
	s_and_saveexec_b64 s[14:15], vcc
	s_xor_b64 s[14:15], exec, s[14:15]
	s_cbranch_execz .LBB3_207
; %bb.198:
	v_cmp_lt_i64_e32 vcc, 9, v[0:1]
	s_and_saveexec_b64 s[12:13], vcc
	s_xor_b64 s[12:13], exec, s[12:13]
	s_cbranch_execz .LBB3_204
; %bb.199:
	v_cmp_lt_i64_e32 vcc, 10, v[0:1]
	s_and_saveexec_b64 s[16:17], vcc
	s_xor_b64 s[16:17], exec, s[16:17]
; %bb.200:
                                        ; implicit-def: $vgpr22
; %bb.201:
	s_andn2_saveexec_b64 s[16:17], s[16:17]
; %bb.202:
	v_mov_b32_e32 v20, v22
; %bb.203:
	s_or_b64 exec, exec, s[16:17]
                                        ; implicit-def: $vgpr23
.LBB3_204:
	s_andn2_saveexec_b64 s[12:13], s[12:13]
; %bb.205:
	v_mov_b32_e32 v20, v23
; %bb.206:
	s_or_b64 exec, exec, s[12:13]
	s_or_b64 s[12:13], s[8:9], exec
	v_mov_b32_e32 v10, v20
                                        ; implicit-def: $vgpr19
.LBB3_207:
	s_or_saveexec_b64 s[14:15], s[14:15]
	s_mov_b64 s[16:17], s[6:7]
	s_mov_b64 s[20:21], s[4:5]
	s_xor_b64 exec, exec, s[14:15]
	s_cbranch_execz .LBB3_211
; %bb.208:
	v_cmp_lt_i64_e32 vcc, 6, v[0:1]
	s_mov_b64 s[20:21], -1
	s_mov_b64 s[18:19], s[12:13]
	s_mov_b64 s[16:17], s[6:7]
	s_and_saveexec_b64 s[22:23], vcc
; %bb.209:
	v_cmp_lt_i64_e32 vcc, 7, v[0:1]
	s_andn2_b64 s[18:19], s[12:13], exec
	s_and_b64 s[24:25], vcc, exec
	s_xor_b64 s[20:21], exec, -1
	s_or_b64 s[16:17], s[6:7], exec
	s_or_b64 s[18:19], s[18:19], s[24:25]
; %bb.210:
	s_or_b64 exec, exec, s[22:23]
	s_andn2_b64 s[22:23], s[4:5], exec
	s_and_b64 s[20:21], s[20:21], exec
	s_or_b64 s[20:21], s[22:23], s[20:21]
	s_andn2_b64 s[22:23], s[6:7], exec
	s_and_b64 s[16:17], s[16:17], exec
	s_andn2_b64 s[12:13], s[12:13], exec
	s_and_b64 s[18:19], s[18:19], exec
	s_or_b64 s[16:17], s[22:23], s[16:17]
	s_or_b64 s[12:13], s[12:13], s[18:19]
	v_mov_b32_e32 v10, v19
.LBB3_211:
	s_or_b64 exec, exec, s[14:15]
	s_andn2_b64 s[18:19], s[4:5], exec
	s_and_b64 s[20:21], s[20:21], exec
	s_or_b64 s[18:19], s[18:19], s[20:21]
	s_andn2_b64 s[20:21], s[6:7], exec
	s_and_b64 s[16:17], s[16:17], exec
	s_or_b64 s[16:17], s[20:21], s[16:17]
	s_andn2_b64 s[20:21], s[8:9], exec
	s_and_b64 s[12:13], s[12:13], exec
	s_xor_b64 s[14:15], exec, -1
	s_or_b64 s[12:13], s[20:21], s[12:13]
.LBB3_212:
	s_or_b64 exec, exec, s[0:1]
	s_and_b64 s[0:1], s[14:15], exec
	s_andn2_b64 s[4:5], s[4:5], exec
	s_and_b64 s[14:15], s[18:19], exec
	s_or_b64 s[4:5], s[4:5], s[14:15]
	s_andn2_b64 s[6:7], s[6:7], exec
	s_and_b64 s[14:15], s[16:17], exec
	s_andn2_b64 s[8:9], s[8:9], exec
	s_and_b64 s[12:13], s[12:13], exec
	s_or_b64 s[6:7], s[6:7], s[14:15]
	s_or_b64 s[8:9], s[8:9], s[12:13]
	v_mov_b32_e32 v12, v14
	v_mov_b32_e32 v11, v15
	s_or_b64 exec, exec, s[2:3]
	s_and_saveexec_b64 s[2:3], s[8:9]
	s_cbranch_execz .LBB3_147
.LBB3_213:
	v_mov_b32_e32 v2, 0
	s_andn2_b64 s[6:7], s[6:7], exec
	global_store_byte v2, v10, s[10:11]
	s_or_b64 exec, exec, s[2:3]
	s_and_saveexec_b64 s[2:3], s[6:7]
	s_cbranch_execz .LBB3_148
.LBB3_214:
	v_mov_b32_e32 v2, 0
	global_store_byte v2, v11, s[10:11]
	s_or_b64 exec, exec, s[2:3]
	s_and_saveexec_b64 s[2:3], s[4:5]
	s_xor_b64 s[2:3], exec, s[2:3]
	s_cbranch_execz .LBB3_149
.LBB3_215:
	v_mov_b32_e32 v2, 0
	global_store_byte v2, v12, s[10:11]
	s_or_b64 exec, exec, s[2:3]
	s_and_b64 exec, exec, s[0:1]
	s_cbranch_execz .LBB3_150
.LBB3_216:
	v_cmp_lt_i64_e32 vcc, 2, v[0:1]
	s_and_saveexec_b64 s[0:1], vcc
	s_xor_b64 s[0:1], exec, s[0:1]
	s_cbranch_execz .LBB3_226
; %bb.217:
	v_cmp_lt_i64_e32 vcc, 3, v[0:1]
	s_and_saveexec_b64 s[2:3], vcc
	s_xor_b64 s[2:3], exec, s[2:3]
	s_cbranch_execz .LBB3_223
; %bb.218:
	;; [unrolled: 5-line block ×3, first 2 shown]
	v_mov_b32_e32 v0, 0
	global_store_byte v0, v9, s[10:11]
                                        ; implicit-def: $vgpr6
.LBB3_220:
	s_andn2_saveexec_b64 s[4:5], s[4:5]
	s_cbranch_execz .LBB3_222
; %bb.221:
	v_mov_b32_e32 v0, 0
	global_store_byte v0, v6, s[10:11]
.LBB3_222:
	s_or_b64 exec, exec, s[4:5]
                                        ; implicit-def: $vgpr8
.LBB3_223:
	s_andn2_saveexec_b64 s[2:3], s[2:3]
	s_cbranch_execz .LBB3_225
; %bb.224:
	v_mov_b32_e32 v0, 0
	global_store_byte v0, v8, s[10:11]
.LBB3_225:
	s_or_b64 exec, exec, s[2:3]
                                        ; implicit-def: $vgpr0_vgpr1
                                        ; implicit-def: $vgpr7
                                        ; implicit-def: $vgpr4
                                        ; implicit-def: $vgpr5
.LBB3_226:
	s_andn2_saveexec_b64 s[0:1], s[0:1]
	s_cbranch_execz .LBB3_150
; %bb.227:
	v_cmp_lt_i64_e32 vcc, 1, v[0:1]
	s_and_saveexec_b64 s[0:1], vcc
	s_xor_b64 s[0:1], exec, s[0:1]
	s_cbranch_execz .LBB3_229
; %bb.228:
	v_mov_b32_e32 v0, 0
	global_store_byte v0, v7, s[10:11]
                                        ; implicit-def: $vgpr4
                                        ; implicit-def: $vgpr0_vgpr1
                                        ; implicit-def: $vgpr5
.LBB3_229:
	s_andn2_saveexec_b64 s[0:1], s[0:1]
	s_cbranch_execz .LBB3_150
; %bb.230:
	v_cmp_ne_u64_e32 vcc, 1, v[0:1]
	s_and_saveexec_b64 s[0:1], vcc
	s_xor_b64 s[0:1], exec, s[0:1]
	s_cbranch_execz .LBB3_232
; %bb.231:
	v_mov_b32_e32 v0, 0
	global_store_byte v0, v5, s[10:11]
                                        ; implicit-def: $vgpr4
.LBB3_232:
	s_andn2_saveexec_b64 s[0:1], s[0:1]
	s_cbranch_execz .LBB3_150
; %bb.233:
	v_mov_b32_e32 v0, 0
	global_store_byte v0, v4, s[10:11]
	s_endpgm
	.section	.rodata,"a",@progbits
	.p2align	6, 0x0
	.amdhsa_kernel _ZN7rocprim17ROCPRIM_304000_NS6detail20lookback_scan_kernelILNS1_25lookback_scan_determinismE0ELb0ENS1_19wrapped_scan_configINS0_14default_configEhEEPKhPhSt10multipliesIhEhhNS1_19lookback_scan_stateIhLb0ELb1EEEEEvT2_T3_mT5_T4_T7_jPT6_SK_bb
		.amdhsa_group_segment_fixed_size 6144
		.amdhsa_private_segment_fixed_size 0
		.amdhsa_kernarg_size 68
		.amdhsa_user_sgpr_count 6
		.amdhsa_user_sgpr_private_segment_buffer 1
		.amdhsa_user_sgpr_dispatch_ptr 0
		.amdhsa_user_sgpr_queue_ptr 0
		.amdhsa_user_sgpr_kernarg_segment_ptr 1
		.amdhsa_user_sgpr_dispatch_id 0
		.amdhsa_user_sgpr_flat_scratch_init 0
		.amdhsa_user_sgpr_private_segment_size 0
		.amdhsa_uses_dynamic_stack 0
		.amdhsa_system_sgpr_private_segment_wavefront_offset 0
		.amdhsa_system_sgpr_workgroup_id_x 1
		.amdhsa_system_sgpr_workgroup_id_y 0
		.amdhsa_system_sgpr_workgroup_id_z 0
		.amdhsa_system_sgpr_workgroup_info 0
		.amdhsa_system_vgpr_workitem_id 0
		.amdhsa_next_free_vgpr 45
		.amdhsa_next_free_sgpr 26
		.amdhsa_reserve_vcc 1
		.amdhsa_reserve_flat_scratch 0
		.amdhsa_float_round_mode_32 0
		.amdhsa_float_round_mode_16_64 0
		.amdhsa_float_denorm_mode_32 3
		.amdhsa_float_denorm_mode_16_64 3
		.amdhsa_dx10_clamp 1
		.amdhsa_ieee_mode 1
		.amdhsa_fp16_overflow 0
		.amdhsa_exception_fp_ieee_invalid_op 0
		.amdhsa_exception_fp_denorm_src 0
		.amdhsa_exception_fp_ieee_div_zero 0
		.amdhsa_exception_fp_ieee_overflow 0
		.amdhsa_exception_fp_ieee_underflow 0
		.amdhsa_exception_fp_ieee_inexact 0
		.amdhsa_exception_int_div_zero 0
	.end_amdhsa_kernel
	.section	.text._ZN7rocprim17ROCPRIM_304000_NS6detail20lookback_scan_kernelILNS1_25lookback_scan_determinismE0ELb0ENS1_19wrapped_scan_configINS0_14default_configEhEEPKhPhSt10multipliesIhEhhNS1_19lookback_scan_stateIhLb0ELb1EEEEEvT2_T3_mT5_T4_T7_jPT6_SK_bb,"axG",@progbits,_ZN7rocprim17ROCPRIM_304000_NS6detail20lookback_scan_kernelILNS1_25lookback_scan_determinismE0ELb0ENS1_19wrapped_scan_configINS0_14default_configEhEEPKhPhSt10multipliesIhEhhNS1_19lookback_scan_stateIhLb0ELb1EEEEEvT2_T3_mT5_T4_T7_jPT6_SK_bb,comdat
.Lfunc_end3:
	.size	_ZN7rocprim17ROCPRIM_304000_NS6detail20lookback_scan_kernelILNS1_25lookback_scan_determinismE0ELb0ENS1_19wrapped_scan_configINS0_14default_configEhEEPKhPhSt10multipliesIhEhhNS1_19lookback_scan_stateIhLb0ELb1EEEEEvT2_T3_mT5_T4_T7_jPT6_SK_bb, .Lfunc_end3-_ZN7rocprim17ROCPRIM_304000_NS6detail20lookback_scan_kernelILNS1_25lookback_scan_determinismE0ELb0ENS1_19wrapped_scan_configINS0_14default_configEhEEPKhPhSt10multipliesIhEhhNS1_19lookback_scan_stateIhLb0ELb1EEEEEvT2_T3_mT5_T4_T7_jPT6_SK_bb
                                        ; -- End function
	.set _ZN7rocprim17ROCPRIM_304000_NS6detail20lookback_scan_kernelILNS1_25lookback_scan_determinismE0ELb0ENS1_19wrapped_scan_configINS0_14default_configEhEEPKhPhSt10multipliesIhEhhNS1_19lookback_scan_stateIhLb0ELb1EEEEEvT2_T3_mT5_T4_T7_jPT6_SK_bb.num_vgpr, 45
	.set _ZN7rocprim17ROCPRIM_304000_NS6detail20lookback_scan_kernelILNS1_25lookback_scan_determinismE0ELb0ENS1_19wrapped_scan_configINS0_14default_configEhEEPKhPhSt10multipliesIhEhhNS1_19lookback_scan_stateIhLb0ELb1EEEEEvT2_T3_mT5_T4_T7_jPT6_SK_bb.num_agpr, 0
	.set _ZN7rocprim17ROCPRIM_304000_NS6detail20lookback_scan_kernelILNS1_25lookback_scan_determinismE0ELb0ENS1_19wrapped_scan_configINS0_14default_configEhEEPKhPhSt10multipliesIhEhhNS1_19lookback_scan_stateIhLb0ELb1EEEEEvT2_T3_mT5_T4_T7_jPT6_SK_bb.numbered_sgpr, 26
	.set _ZN7rocprim17ROCPRIM_304000_NS6detail20lookback_scan_kernelILNS1_25lookback_scan_determinismE0ELb0ENS1_19wrapped_scan_configINS0_14default_configEhEEPKhPhSt10multipliesIhEhhNS1_19lookback_scan_stateIhLb0ELb1EEEEEvT2_T3_mT5_T4_T7_jPT6_SK_bb.num_named_barrier, 0
	.set _ZN7rocprim17ROCPRIM_304000_NS6detail20lookback_scan_kernelILNS1_25lookback_scan_determinismE0ELb0ENS1_19wrapped_scan_configINS0_14default_configEhEEPKhPhSt10multipliesIhEhhNS1_19lookback_scan_stateIhLb0ELb1EEEEEvT2_T3_mT5_T4_T7_jPT6_SK_bb.private_seg_size, 0
	.set _ZN7rocprim17ROCPRIM_304000_NS6detail20lookback_scan_kernelILNS1_25lookback_scan_determinismE0ELb0ENS1_19wrapped_scan_configINS0_14default_configEhEEPKhPhSt10multipliesIhEhhNS1_19lookback_scan_stateIhLb0ELb1EEEEEvT2_T3_mT5_T4_T7_jPT6_SK_bb.uses_vcc, 1
	.set _ZN7rocprim17ROCPRIM_304000_NS6detail20lookback_scan_kernelILNS1_25lookback_scan_determinismE0ELb0ENS1_19wrapped_scan_configINS0_14default_configEhEEPKhPhSt10multipliesIhEhhNS1_19lookback_scan_stateIhLb0ELb1EEEEEvT2_T3_mT5_T4_T7_jPT6_SK_bb.uses_flat_scratch, 0
	.set _ZN7rocprim17ROCPRIM_304000_NS6detail20lookback_scan_kernelILNS1_25lookback_scan_determinismE0ELb0ENS1_19wrapped_scan_configINS0_14default_configEhEEPKhPhSt10multipliesIhEhhNS1_19lookback_scan_stateIhLb0ELb1EEEEEvT2_T3_mT5_T4_T7_jPT6_SK_bb.has_dyn_sized_stack, 0
	.set _ZN7rocprim17ROCPRIM_304000_NS6detail20lookback_scan_kernelILNS1_25lookback_scan_determinismE0ELb0ENS1_19wrapped_scan_configINS0_14default_configEhEEPKhPhSt10multipliesIhEhhNS1_19lookback_scan_stateIhLb0ELb1EEEEEvT2_T3_mT5_T4_T7_jPT6_SK_bb.has_recursion, 0
	.set _ZN7rocprim17ROCPRIM_304000_NS6detail20lookback_scan_kernelILNS1_25lookback_scan_determinismE0ELb0ENS1_19wrapped_scan_configINS0_14default_configEhEEPKhPhSt10multipliesIhEhhNS1_19lookback_scan_stateIhLb0ELb1EEEEEvT2_T3_mT5_T4_T7_jPT6_SK_bb.has_indirect_call, 0
	.section	.AMDGPU.csdata,"",@progbits
; Kernel info:
; codeLenInByte = 8780
; TotalNumSgprs: 30
; NumVgprs: 45
; ScratchSize: 0
; MemoryBound: 0
; FloatMode: 240
; IeeeMode: 1
; LDSByteSize: 6144 bytes/workgroup (compile time only)
; SGPRBlocks: 3
; VGPRBlocks: 11
; NumSGPRsForWavesPerEU: 30
; NumVGPRsForWavesPerEU: 45
; Occupancy: 5
; WaveLimiterHint : 1
; COMPUTE_PGM_RSRC2:SCRATCH_EN: 0
; COMPUTE_PGM_RSRC2:USER_SGPR: 6
; COMPUTE_PGM_RSRC2:TRAP_HANDLER: 0
; COMPUTE_PGM_RSRC2:TGID_X_EN: 1
; COMPUTE_PGM_RSRC2:TGID_Y_EN: 0
; COMPUTE_PGM_RSRC2:TGID_Z_EN: 0
; COMPUTE_PGM_RSRC2:TIDIG_COMP_CNT: 0
	.section	.text._ZN7rocprim17ROCPRIM_304000_NS6detail16transform_kernelINS1_24wrapped_transform_configINS0_14default_configEhEEhPhS6_NS0_8identityIhEEEEvT1_mT2_T3_,"axG",@progbits,_ZN7rocprim17ROCPRIM_304000_NS6detail16transform_kernelINS1_24wrapped_transform_configINS0_14default_configEhEEhPhS6_NS0_8identityIhEEEEvT1_mT2_T3_,comdat
	.protected	_ZN7rocprim17ROCPRIM_304000_NS6detail16transform_kernelINS1_24wrapped_transform_configINS0_14default_configEhEEhPhS6_NS0_8identityIhEEEEvT1_mT2_T3_ ; -- Begin function _ZN7rocprim17ROCPRIM_304000_NS6detail16transform_kernelINS1_24wrapped_transform_configINS0_14default_configEhEEhPhS6_NS0_8identityIhEEEEvT1_mT2_T3_
	.globl	_ZN7rocprim17ROCPRIM_304000_NS6detail16transform_kernelINS1_24wrapped_transform_configINS0_14default_configEhEEhPhS6_NS0_8identityIhEEEEvT1_mT2_T3_
	.p2align	8
	.type	_ZN7rocprim17ROCPRIM_304000_NS6detail16transform_kernelINS1_24wrapped_transform_configINS0_14default_configEhEEhPhS6_NS0_8identityIhEEEEvT1_mT2_T3_,@function
_ZN7rocprim17ROCPRIM_304000_NS6detail16transform_kernelINS1_24wrapped_transform_configINS0_14default_configEhEEhPhS6_NS0_8identityIhEEEEvT1_mT2_T3_: ; @_ZN7rocprim17ROCPRIM_304000_NS6detail16transform_kernelINS1_24wrapped_transform_configINS0_14default_configEhEEhPhS6_NS0_8identityIhEEEEvT1_mT2_T3_
; %bb.0:
	s_load_dword s7, s[4:5], 0x20
	s_load_dwordx4 s[0:3], s[4:5], 0x0
	s_load_dwordx2 s[34:35], s[4:5], 0x10
	s_lshl_b32 s33, s6, 10
	s_waitcnt lgkmcnt(0)
	s_add_i32 s7, s7, -1
	s_add_u32 s0, s0, s33
	s_addc_u32 s1, s1, 0
	v_mov_b32_e32 v2, s1
	v_add_co_u32_e32 v1, vcc, s0, v0
	s_cmp_lg_u32 s6, s7
	v_addc_co_u32_e32 v2, vcc, 0, v2, vcc
	s_cbranch_scc0 .LBB4_2
; %bb.1:
	global_load_ubyte v6, v[1:2], off
	global_load_ubyte v7, v[1:2], off offset:64
	global_load_ubyte v8, v[1:2], off offset:128
	;; [unrolled: 1-line block ×15, first 2 shown]
	s_add_u32 s3, s34, s33
	s_addc_u32 s4, s35, 0
	v_mov_b32_e32 v5, s4
	v_add_co_u32_e32 v4, vcc, s3, v0
	v_addc_co_u32_e32 v5, vcc, 0, v5, vcc
	s_mov_b64 s[36:37], -1
	s_waitcnt vmcnt(15)
	global_store_byte v[4:5], v6, off
	s_waitcnt vmcnt(15)
	global_store_byte v[4:5], v7, off offset:64
	s_waitcnt vmcnt(15)
	global_store_byte v[4:5], v8, off offset:128
	;; [unrolled: 2-line block ×14, first 2 shown]
	s_cbranch_execz .LBB4_3
	s_branch .LBB4_66
.LBB4_2:
	s_mov_b64 s[36:37], 0
                                        ; implicit-def: $vgpr3
.LBB4_3:
	s_sub_i32 s30, s2, s33
	v_cmp_gt_u32_e32 vcc, s30, v0
	v_mov_b32_e32 v20, 0
	v_mov_b32_e32 v21, 0
	;; [unrolled: 1-line block ×15, first 2 shown]
	s_and_saveexec_b64 s[0:1], vcc
	s_cbranch_execz .LBB4_5
; %bb.4:
	global_load_ubyte v21, v[1:2], off
	v_mov_b32_e32 v22, 0
	v_mov_b32_e32 v16, 0
	;; [unrolled: 1-line block ×13, first 2 shown]
.LBB4_5:
	s_or_b64 exec, exec, s[0:1]
	s_waitcnt vmcnt(15)
	v_or_b32_e32 v3, 64, v0
	v_cmp_gt_u32_e64 s[0:1], s30, v3
	v_mov_b32_e32 v23, v20
	s_and_saveexec_b64 s[2:3], s[0:1]
	s_cbranch_execz .LBB4_7
; %bb.6:
	global_load_ubyte v23, v[1:2], off offset:64
.LBB4_7:
	s_or_b64 exec, exec, s[2:3]
	v_or_b32_e32 v3, 0x80, v0
	v_cmp_gt_u32_e64 s[2:3], s30, v3
	s_and_saveexec_b64 s[4:5], s[2:3]
	s_cbranch_execz .LBB4_9
; %bb.8:
	global_load_ubyte v20, v[1:2], off offset:128
.LBB4_9:
	s_or_b64 exec, exec, s[4:5]
	v_or_b32_e32 v3, 0xc0, v0
	v_cmp_gt_u32_e64 s[4:5], s30, v3
	;; [unrolled: 8-line block ×14, first 2 shown]
	s_and_saveexec_b64 s[30:31], s[28:29]
	s_cbranch_execz .LBB4_35
; %bb.34:
	global_load_ubyte v11, v[1:2], off offset:960
.LBB4_35:
	s_or_b64 exec, exec, s[30:31]
	s_mov_b32 s30, 0xffff
	s_waitcnt vmcnt(0)
	v_and_b32_sdwa v1, s30, v21 dst_sel:DWORD dst_unused:UNUSED_PAD src0_sel:DWORD src1_sel:BYTE_0
	s_add_u32 s30, s34, s33
	s_addc_u32 s31, s35, 0
	v_cndmask_b32_e32 v5, 0, v1, vcc
	v_mov_b32_e32 v2, s31
	v_add_co_u32_e64 v1, s[30:31], s30, v0
	v_mov_b32_e32 v6, 0
	v_addc_co_u32_e64 v2, s[30:31], 0, v2, s[30:31]
	s_and_saveexec_b64 s[30:31], vcc
	s_cbranch_execz .LBB4_37
; %bb.36:
	global_store_byte v[1:2], v5, off
.LBB4_37:
	s_or_b64 exec, exec, s[30:31]
	s_mov_b32 s30, 0xc0c0004
	v_perm_b32 v3, v21, v23, s30
	v_perm_b32 v4, v20, v22, s30
	v_lshl_or_b32 v24, v4, 16, v3
	v_cndmask_b32_e64 v3, v5, v24, s[0:1]
	s_and_saveexec_b64 s[30:31], s[0:1]
	s_cbranch_execz .LBB4_39
; %bb.38:
	v_lshrrev_b32_e32 v4, 8, v3
	global_store_byte v[1:2], v4, off offset:64
.LBB4_39:
	s_or_b64 exec, exec, s[30:31]
	v_and_b32_e32 v4, 0xffffff00, v3
	v_or_b32_e32 v26, v5, v4
	v_mov_b32_e32 v4, 8
	s_mov_b64 vcc, s[2:3]
	v_lshrrev_b32_sdwa v25, v4, v3 dst_sel:BYTE_1 dst_unused:UNUSED_PAD src0_sel:DWORD src1_sel:DWORD
	v_lshrrev_b64 v[3:4], 24, 0
	v_lshrrev_b64 v[6:7], 24, v[5:6]
	v_cndmask_b32_sdwa v4, v26, v24, vcc dst_sel:DWORD dst_unused:UNUSED_PAD src0_sel:WORD_0 src1_sel:DWORD
	s_and_saveexec_b64 s[0:1], s[2:3]
	s_cbranch_execz .LBB4_41
; %bb.40:
	global_store_byte_d16_hi v[1:2], v4, off offset:128
.LBB4_41:
	s_or_b64 exec, exec, s[0:1]
	s_mov_b32 s0, 0xc0c0006
	v_or_b32_e32 v5, v5, v25
	v_perm_b32 v4, v4, v6, s0
	v_and_b32_e32 v5, 0xffff, v5
	s_mov_b32 s0, 0xc0c0004
	v_lshl_or_b32 v4, v4, 16, v5
	v_perm_b32 v5, v21, v23, s0
	v_perm_b32 v6, v20, v22, s0
	v_lshl_or_b32 v5, v6, 16, v5
	v_cndmask_b32_e64 v5, v4, v5, s[4:5]
	v_perm_b32 v4, v16, v17, s0
	v_perm_b32 v6, v18, v19, s0
	v_lshl_or_b32 v4, v6, 16, v4
	s_and_saveexec_b64 s[0:1], s[4:5]
	s_cbranch_execz .LBB4_43
; %bb.42:
	v_lshrrev_b32_e32 v5, 24, v5
	global_store_byte v[1:2], v5, off offset:192
.LBB4_43:
	s_or_b64 exec, exec, s[0:1]
	v_cndmask_b32_e64 v4, 0, v4, s[6:7]
	s_and_saveexec_b64 s[0:1], s[6:7]
	s_cbranch_execz .LBB4_45
; %bb.44:
	global_store_byte v[1:2], v4, off offset:256
.LBB4_45:
	s_or_b64 exec, exec, s[0:1]
	s_mov_b32 s0, 0xc0c0004
	v_perm_b32 v5, v16, v17, s0
	v_perm_b32 v7, v18, v19, s0
	v_and_b32_e32 v6, 0xff, v4
	v_lshl_or_b32 v7, v7, 16, v5
	v_cndmask_b32_e64 v20, v6, v7, s[8:9]
	v_lshrrev_b32_e32 v5, 8, v20
	s_and_saveexec_b64 s[0:1], s[8:9]
	s_cbranch_execz .LBB4_47
; %bb.46:
	global_store_byte v[1:2], v5, off offset:320
.LBB4_47:
	s_or_b64 exec, exec, s[0:1]
	v_and_b32_e32 v20, 0xffffff00, v20
	v_or_b32_e32 v6, v6, v20
	s_mov_b64 vcc, s[10:11]
	v_cndmask_b32_sdwa v6, v6, v7, vcc dst_sel:DWORD dst_unused:UNUSED_PAD src0_sel:WORD_0 src1_sel:DWORD
	s_and_saveexec_b64 s[0:1], s[10:11]
	s_cbranch_execz .LBB4_49
; %bb.48:
	global_store_byte_d16_hi v[1:2], v6, off offset:384
.LBB4_49:
	s_or_b64 exec, exec, s[0:1]
	s_mov_b32 s0, 0xc0c0004
	v_perm_b32 v4, v4, v5, s0
	s_mov_b32 s1, 0xff0000
	v_and_or_b32 v4, v6, s1, v4
	v_perm_b32 v5, v16, v17, s0
	v_perm_b32 v6, v18, v19, s0
	v_lshl_or_b32 v5, v6, 16, v5
	v_cndmask_b32_e64 v5, v4, v5, s[12:13]
	v_perm_b32 v4, v12, v13, s0
	v_perm_b32 v6, v14, v15, s0
	v_lshl_or_b32 v4, v6, 16, v4
	s_and_saveexec_b64 s[0:1], s[12:13]
	s_cbranch_execz .LBB4_51
; %bb.50:
	v_lshrrev_b32_e32 v5, 24, v5
	global_store_byte v[1:2], v5, off offset:448
.LBB4_51:
	s_or_b64 exec, exec, s[0:1]
	v_lshl_or_b32 v5, v3, 24, 0
	v_cndmask_b32_e64 v4, v5, v4, s[14:15]
	s_and_saveexec_b64 s[0:1], s[14:15]
	s_cbranch_execz .LBB4_53
; %bb.52:
	global_store_byte v[1:2], v4, off offset:512
.LBB4_53:
	s_or_b64 exec, exec, s[0:1]
	s_mov_b32 s0, 0xc0c0004
	s_mov_b32 s1, 0x40c0c00
	v_perm_b32 v6, v12, v13, s0
	v_perm_b32 v7, v14, v15, s0
	;; [unrolled: 1-line block ×3, first 2 shown]
	v_lshl_or_b32 v6, v7, 16, v6
	v_cndmask_b32_e64 v7, v5, v6, s[16:17]
	v_lshrrev_b32_e32 v5, 8, v7
	s_and_saveexec_b64 s[0:1], s[16:17]
	s_cbranch_execz .LBB4_55
; %bb.54:
	global_store_byte v[1:2], v5, off offset:576
.LBB4_55:
	s_or_b64 exec, exec, s[0:1]
	s_mov_b32 s0, 0xc0c0104
	v_perm_b32 v7, v4, v7, s0
	v_lshl_or_b32 v7, v3, 24, v7
	v_cndmask_b32_e64 v6, v7, v6, s[18:19]
	s_and_saveexec_b64 s[0:1], s[18:19]
	s_cbranch_execz .LBB4_57
; %bb.56:
	global_store_byte_d16_hi v[1:2], v6, off offset:640
.LBB4_57:
	s_or_b64 exec, exec, s[0:1]
	s_mov_b32 s0, 0xc0c0004
	s_mov_b32 s1, 0xc0c0006
	v_perm_b32 v4, v4, v5, s0
	v_perm_b32 v3, v6, v3, s1
	v_lshl_or_b32 v3, v3, 16, v4
	v_perm_b32 v4, v12, v13, s0
	v_perm_b32 v5, v14, v15, s0
	v_lshl_or_b32 v4, v5, 16, v4
	v_cndmask_b32_e64 v4, v3, v4, s[20:21]
	v_perm_b32 v3, v8, v9, s0
	v_perm_b32 v5, v10, v11, s0
	v_lshl_or_b32 v3, v5, 16, v3
	s_and_saveexec_b64 s[0:1], s[20:21]
	s_cbranch_execz .LBB4_59
; %bb.58:
	v_lshrrev_b32_e32 v4, 24, v4
	global_store_byte v[1:2], v4, off offset:704
.LBB4_59:
	s_or_b64 exec, exec, s[0:1]
	v_cndmask_b32_e64 v4, 0, v3, s[22:23]
	s_and_saveexec_b64 s[0:1], s[22:23]
	s_cbranch_execz .LBB4_61
; %bb.60:
	global_store_byte v[1:2], v4, off offset:768
.LBB4_61:
	s_or_b64 exec, exec, s[0:1]
	s_mov_b32 s0, 0xc0c0004
	v_perm_b32 v3, v8, v9, s0
	v_perm_b32 v5, v10, v11, s0
	v_lshl_or_b32 v3, v5, 16, v3
	s_mov_b64 vcc, s[24:25]
	v_cndmask_b32_sdwa v3, v4, v3, vcc dst_sel:DWORD dst_unused:UNUSED_PAD src0_sel:BYTE_0 src1_sel:DWORD
	v_lshrrev_b32_e32 v5, 8, v3
	s_and_saveexec_b64 s[0:1], s[24:25]
	s_cbranch_execnz .LBB4_69
; %bb.62:
	s_or_b64 exec, exec, s[0:1]
	s_and_saveexec_b64 s[0:1], s[26:27]
	s_cbranch_execnz .LBB4_70
.LBB4_63:
	s_or_b64 exec, exec, s[0:1]
                                        ; implicit-def: $vgpr3
	s_and_saveexec_b64 s[0:1], s[28:29]
.LBB4_64:
	s_mov_b32 s2, 0xc0c0004
	v_perm_b32 v1, v8, v9, s2
	v_perm_b32 v2, v10, v11, s2
	v_lshl_or_b32 v1, v2, 16, v1
	v_perm_b32 v2, v4, v5, s2
	v_cndmask_b32_e64 v1, v2, v1, s[28:29]
	v_lshrrev_b32_e32 v3, 24, v1
	s_or_b64 s[36:37], s[36:37], exec
.LBB4_65:
	s_or_b64 exec, exec, s[0:1]
.LBB4_66:
	s_and_saveexec_b64 s[0:1], s[36:37]
	s_cbranch_execnz .LBB4_68
; %bb.67:
	s_endpgm
.LBB4_68:
	s_add_u32 s0, s34, s33
	s_addc_u32 s1, s35, 0
	v_mov_b32_e32 v1, s1
	v_add_co_u32_e32 v0, vcc, s0, v0
	v_addc_co_u32_e32 v1, vcc, 0, v1, vcc
	s_waitcnt vmcnt(15)
	global_store_byte v[0:1], v3, off offset:960
	s_endpgm
.LBB4_69:
	global_store_byte v[1:2], v5, off offset:832
	s_or_b64 exec, exec, s[0:1]
	s_and_saveexec_b64 s[0:1], s[26:27]
	s_cbranch_execz .LBB4_63
.LBB4_70:
	s_mov_b32 s2, 0xc0c0004
	v_perm_b32 v3, v8, v9, s2
	v_perm_b32 v6, v10, v11, s2
	v_lshl_or_b32 v3, v6, 16, v3
	v_perm_b32 v6, v4, v5, s2
	v_cndmask_b32_e64 v3, v6, v3, s[26:27]
	global_store_byte_d16_hi v[1:2], v3, off offset:896
	s_or_b64 exec, exec, s[0:1]
                                        ; implicit-def: $vgpr3
	s_and_saveexec_b64 s[0:1], s[28:29]
	s_cbranch_execnz .LBB4_64
	s_branch .LBB4_65
	.section	.rodata,"a",@progbits
	.p2align	6, 0x0
	.amdhsa_kernel _ZN7rocprim17ROCPRIM_304000_NS6detail16transform_kernelINS1_24wrapped_transform_configINS0_14default_configEhEEhPhS6_NS0_8identityIhEEEEvT1_mT2_T3_
		.amdhsa_group_segment_fixed_size 0
		.amdhsa_private_segment_fixed_size 0
		.amdhsa_kernarg_size 288
		.amdhsa_user_sgpr_count 6
		.amdhsa_user_sgpr_private_segment_buffer 1
		.amdhsa_user_sgpr_dispatch_ptr 0
		.amdhsa_user_sgpr_queue_ptr 0
		.amdhsa_user_sgpr_kernarg_segment_ptr 1
		.amdhsa_user_sgpr_dispatch_id 0
		.amdhsa_user_sgpr_flat_scratch_init 0
		.amdhsa_user_sgpr_private_segment_size 0
		.amdhsa_uses_dynamic_stack 0
		.amdhsa_system_sgpr_private_segment_wavefront_offset 0
		.amdhsa_system_sgpr_workgroup_id_x 1
		.amdhsa_system_sgpr_workgroup_id_y 0
		.amdhsa_system_sgpr_workgroup_id_z 0
		.amdhsa_system_sgpr_workgroup_info 0
		.amdhsa_system_vgpr_workitem_id 0
		.amdhsa_next_free_vgpr 27
		.amdhsa_next_free_sgpr 38
		.amdhsa_reserve_vcc 1
		.amdhsa_reserve_flat_scratch 0
		.amdhsa_float_round_mode_32 0
		.amdhsa_float_round_mode_16_64 0
		.amdhsa_float_denorm_mode_32 3
		.amdhsa_float_denorm_mode_16_64 3
		.amdhsa_dx10_clamp 1
		.amdhsa_ieee_mode 1
		.amdhsa_fp16_overflow 0
		.amdhsa_exception_fp_ieee_invalid_op 0
		.amdhsa_exception_fp_denorm_src 0
		.amdhsa_exception_fp_ieee_div_zero 0
		.amdhsa_exception_fp_ieee_overflow 0
		.amdhsa_exception_fp_ieee_underflow 0
		.amdhsa_exception_fp_ieee_inexact 0
		.amdhsa_exception_int_div_zero 0
	.end_amdhsa_kernel
	.section	.text._ZN7rocprim17ROCPRIM_304000_NS6detail16transform_kernelINS1_24wrapped_transform_configINS0_14default_configEhEEhPhS6_NS0_8identityIhEEEEvT1_mT2_T3_,"axG",@progbits,_ZN7rocprim17ROCPRIM_304000_NS6detail16transform_kernelINS1_24wrapped_transform_configINS0_14default_configEhEEhPhS6_NS0_8identityIhEEEEvT1_mT2_T3_,comdat
.Lfunc_end4:
	.size	_ZN7rocprim17ROCPRIM_304000_NS6detail16transform_kernelINS1_24wrapped_transform_configINS0_14default_configEhEEhPhS6_NS0_8identityIhEEEEvT1_mT2_T3_, .Lfunc_end4-_ZN7rocprim17ROCPRIM_304000_NS6detail16transform_kernelINS1_24wrapped_transform_configINS0_14default_configEhEEhPhS6_NS0_8identityIhEEEEvT1_mT2_T3_
                                        ; -- End function
	.set _ZN7rocprim17ROCPRIM_304000_NS6detail16transform_kernelINS1_24wrapped_transform_configINS0_14default_configEhEEhPhS6_NS0_8identityIhEEEEvT1_mT2_T3_.num_vgpr, 27
	.set _ZN7rocprim17ROCPRIM_304000_NS6detail16transform_kernelINS1_24wrapped_transform_configINS0_14default_configEhEEhPhS6_NS0_8identityIhEEEEvT1_mT2_T3_.num_agpr, 0
	.set _ZN7rocprim17ROCPRIM_304000_NS6detail16transform_kernelINS1_24wrapped_transform_configINS0_14default_configEhEEhPhS6_NS0_8identityIhEEEEvT1_mT2_T3_.numbered_sgpr, 38
	.set _ZN7rocprim17ROCPRIM_304000_NS6detail16transform_kernelINS1_24wrapped_transform_configINS0_14default_configEhEEhPhS6_NS0_8identityIhEEEEvT1_mT2_T3_.num_named_barrier, 0
	.set _ZN7rocprim17ROCPRIM_304000_NS6detail16transform_kernelINS1_24wrapped_transform_configINS0_14default_configEhEEhPhS6_NS0_8identityIhEEEEvT1_mT2_T3_.private_seg_size, 0
	.set _ZN7rocprim17ROCPRIM_304000_NS6detail16transform_kernelINS1_24wrapped_transform_configINS0_14default_configEhEEhPhS6_NS0_8identityIhEEEEvT1_mT2_T3_.uses_vcc, 1
	.set _ZN7rocprim17ROCPRIM_304000_NS6detail16transform_kernelINS1_24wrapped_transform_configINS0_14default_configEhEEhPhS6_NS0_8identityIhEEEEvT1_mT2_T3_.uses_flat_scratch, 0
	.set _ZN7rocprim17ROCPRIM_304000_NS6detail16transform_kernelINS1_24wrapped_transform_configINS0_14default_configEhEEhPhS6_NS0_8identityIhEEEEvT1_mT2_T3_.has_dyn_sized_stack, 0
	.set _ZN7rocprim17ROCPRIM_304000_NS6detail16transform_kernelINS1_24wrapped_transform_configINS0_14default_configEhEEhPhS6_NS0_8identityIhEEEEvT1_mT2_T3_.has_recursion, 0
	.set _ZN7rocprim17ROCPRIM_304000_NS6detail16transform_kernelINS1_24wrapped_transform_configINS0_14default_configEhEEhPhS6_NS0_8identityIhEEEEvT1_mT2_T3_.has_indirect_call, 0
	.section	.AMDGPU.csdata,"",@progbits
; Kernel info:
; codeLenInByte = 2276
; TotalNumSgprs: 42
; NumVgprs: 27
; ScratchSize: 0
; MemoryBound: 0
; FloatMode: 240
; IeeeMode: 1
; LDSByteSize: 0 bytes/workgroup (compile time only)
; SGPRBlocks: 5
; VGPRBlocks: 6
; NumSGPRsForWavesPerEU: 42
; NumVGPRsForWavesPerEU: 27
; Occupancy: 9
; WaveLimiterHint : 0
; COMPUTE_PGM_RSRC2:SCRATCH_EN: 0
; COMPUTE_PGM_RSRC2:USER_SGPR: 6
; COMPUTE_PGM_RSRC2:TRAP_HANDLER: 0
; COMPUTE_PGM_RSRC2:TGID_X_EN: 1
; COMPUTE_PGM_RSRC2:TGID_Y_EN: 0
; COMPUTE_PGM_RSRC2:TGID_Z_EN: 0
; COMPUTE_PGM_RSRC2:TIDIG_COMP_CNT: 0
	.section	.text._ZN7rocprim17ROCPRIM_304000_NS6detail18single_scan_kernelILb0ENS1_19wrapped_scan_configINS0_14default_configEhEEPKhPhSt10multipliesIhEhhEEvT1_mT4_T2_T3_,"axG",@progbits,_ZN7rocprim17ROCPRIM_304000_NS6detail18single_scan_kernelILb0ENS1_19wrapped_scan_configINS0_14default_configEhEEPKhPhSt10multipliesIhEhhEEvT1_mT4_T2_T3_,comdat
	.protected	_ZN7rocprim17ROCPRIM_304000_NS6detail18single_scan_kernelILb0ENS1_19wrapped_scan_configINS0_14default_configEhEEPKhPhSt10multipliesIhEhhEEvT1_mT4_T2_T3_ ; -- Begin function _ZN7rocprim17ROCPRIM_304000_NS6detail18single_scan_kernelILb0ENS1_19wrapped_scan_configINS0_14default_configEhEEPKhPhSt10multipliesIhEhhEEvT1_mT4_T2_T3_
	.globl	_ZN7rocprim17ROCPRIM_304000_NS6detail18single_scan_kernelILb0ENS1_19wrapped_scan_configINS0_14default_configEhEEPKhPhSt10multipliesIhEhhEEvT1_mT4_T2_T3_
	.p2align	8
	.type	_ZN7rocprim17ROCPRIM_304000_NS6detail18single_scan_kernelILb0ENS1_19wrapped_scan_configINS0_14default_configEhEEPKhPhSt10multipliesIhEhhEEvT1_mT4_T2_T3_,@function
_ZN7rocprim17ROCPRIM_304000_NS6detail18single_scan_kernelILb0ENS1_19wrapped_scan_configINS0_14default_configEhEEPKhPhSt10multipliesIhEhhEEvT1_mT4_T2_T3_: ; @_ZN7rocprim17ROCPRIM_304000_NS6detail18single_scan_kernelILb0ENS1_19wrapped_scan_configINS0_14default_configEhEEPKhPhSt10multipliesIhEhhEEvT1_mT4_T2_T3_
; %bb.0:
	s_load_dwordx4 s[48:51], s[4:5], 0x0
	v_mov_b32_e32 v1, 0
	s_waitcnt lgkmcnt(0)
	global_load_ubyte v9, v1, s[48:49]
	v_mov_b32_e32 v1, s49
	v_add_co_u32_e32 v7, vcc, s48, v0
	v_addc_co_u32_e32 v8, vcc, 0, v1, vcc
	s_waitcnt vmcnt(0)
	v_readfirstlane_b32 s0, v9
	s_lshl_b32 s1, s0, 8
	s_or_b32 s0, s0, s1
	s_and_b32 s1, s0, 0xffff
	s_lshl_b32 s0, s0, 16
	s_or_b32 s8, s1, s0
	s_mov_b32 s9, s8
	s_mov_b32 s10, s8
	;; [unrolled: 1-line block ×5, first 2 shown]
	v_mov_b32_e32 v1, s8
	v_cmp_gt_u32_e64 s[0:1], s50, v0
	v_mov_b32_e32 v2, s9
	v_mov_b32_e32 v3, s10
	;; [unrolled: 1-line block ×5, first 2 shown]
	s_and_saveexec_b64 s[2:3], s[0:1]
	s_cbranch_execz .LBB5_2
; %bb.1:
	global_load_ubyte v9, v[7:8], off
	v_mov_b32_e32 v1, 0x3020104
	v_mov_b32_e32 v2, s8
	;; [unrolled: 1-line block ×6, first 2 shown]
	s_waitcnt vmcnt(0)
	v_perm_b32 v1, v9, s8, v1
.LBB5_2:
	s_or_b64 exec, exec, s[2:3]
	v_or_b32_e32 v10, 0x100, v0
	v_cmp_gt_u32_e64 s[2:3], s50, v10
	s_and_saveexec_b64 s[6:7], s[2:3]
	s_cbranch_execz .LBB5_4
; %bb.3:
	global_load_ubyte v10, v[7:8], off offset:256
	s_mov_b32 s8, 0x7060004
	s_waitcnt vmcnt(0)
	v_perm_b32 v1, v1, v10, s8
.LBB5_4:
	s_or_b64 exec, exec, s[6:7]
	v_or_b32_e32 v10, 0x200, v0
	v_cmp_gt_u32_e64 s[6:7], s50, v10
	s_and_saveexec_b64 s[8:9], s[6:7]
	s_cbranch_execz .LBB5_6
; %bb.5:
	global_load_ubyte v10, v[7:8], off offset:512
	s_mov_b32 s10, 0x7000504
	s_waitcnt vmcnt(0)
	v_perm_b32 v1, v1, v10, s10
.LBB5_6:
	;; [unrolled: 11-line block ×15, first 2 shown]
	s_or_b64 exec, exec, s[36:37]
	v_or_b32_e32 v10, 0x1000, v0
	v_cmp_gt_u32_e64 s[36:37], s50, v10
	s_and_saveexec_b64 s[38:39], s[36:37]
	s_cbranch_execz .LBB5_34
; %bb.33:
	v_add_co_u32_e32 v10, vcc, 0x1000, v7
	v_addc_co_u32_e32 v11, vcc, 0, v8, vcc
	global_load_ubyte v10, v[10:11], off
	s_mov_b32 s33, 0x3020104
	s_waitcnt vmcnt(0)
	v_perm_b32 v5, v10, v5, s33
.LBB5_34:
	s_or_b64 exec, exec, s[38:39]
	v_or_b32_e32 v10, 0x1100, v0
	v_cmp_gt_u32_e64 s[38:39], s50, v10
	s_and_saveexec_b64 s[40:41], s[38:39]
	s_cbranch_execz .LBB5_36
; %bb.35:
	v_add_co_u32_e32 v10, vcc, 0x1000, v7
	v_addc_co_u32_e32 v11, vcc, 0, v8, vcc
	global_load_ubyte v10, v[10:11], off offset:256
	s_mov_b32 s33, 0x7060004
	s_waitcnt vmcnt(0)
	v_perm_b32 v5, v5, v10, s33
.LBB5_36:
	s_or_b64 exec, exec, s[40:41]
	v_or_b32_e32 v10, 0x1200, v0
	v_cmp_gt_u32_e64 s[40:41], s50, v10
	s_and_saveexec_b64 s[42:43], s[40:41]
	s_cbranch_execz .LBB5_38
; %bb.37:
	v_add_co_u32_e32 v10, vcc, 0x1000, v7
	v_addc_co_u32_e32 v11, vcc, 0, v8, vcc
	global_load_ubyte v10, v[10:11], off offset:512
	s_mov_b32 s33, 0x7000504
	s_waitcnt vmcnt(0)
	v_perm_b32 v5, v5, v10, s33
.LBB5_38:
	;; [unrolled: 13-line block ×7, first 2 shown]
	s_or_b64 exec, exec, s[52:53]
	v_lshrrev_b32_e32 v7, 8, v1
	ds_write_b8 v0, v9
	ds_write_b8 v0, v7 offset:256
	ds_write_b8_d16_hi v0, v1 offset:512
	v_lshrrev_b32_e32 v1, 24, v1
	ds_write_b8 v0, v1 offset:768
	ds_write_b8 v0, v2 offset:1024
	v_lshrrev_b32_e32 v1, 8, v2
	ds_write_b8 v0, v1 offset:1280
	ds_write_b8_d16_hi v0, v2 offset:1536
	v_lshrrev_b32_e32 v1, 24, v2
	ds_write_b8 v0, v1 offset:1792
	ds_write_b8 v0, v3 offset:2048
	v_lshrrev_b32_e32 v1, 8, v3
	;; [unrolled: 6-line block ×5, first 2 shown]
	ds_write_b8 v0, v1 offset:5376
	ds_write_b8_d16_hi v0, v6 offset:5632
	v_lshrrev_b32_e32 v1, 24, v6
	v_mad_u32_u24 v5, v0, 23, v0
	ds_write_b8 v0, v1 offset:5888
	s_waitcnt lgkmcnt(0)
	s_barrier
	ds_read2_b64 v[1:4], v5 offset1:1
	ds_read_b64 v[5:6], v5 offset:16
	s_waitcnt lgkmcnt(0)
	s_barrier
	v_lshrrev_b32_e32 v12, 8, v1
	v_mul_lo_u16_e32 v13, v12, v1
	v_mul_lo_u16_sdwa v13, v13, v1 dst_sel:DWORD dst_unused:UNUSED_PAD src0_sel:DWORD src1_sel:WORD_1
	v_mul_lo_u16_sdwa v13, v13, v1 dst_sel:DWORD dst_unused:UNUSED_PAD src0_sel:DWORD src1_sel:BYTE_3
	v_lshrrev_b32_e32 v11, 8, v2
	v_mul_lo_u16_e32 v13, v13, v2
	v_mul_lo_u16_e32 v13, v13, v11
	v_mul_lo_u16_sdwa v13, v13, v2 dst_sel:DWORD dst_unused:UNUSED_PAD src0_sel:DWORD src1_sel:WORD_1
	v_mul_lo_u16_sdwa v13, v13, v2 dst_sel:DWORD dst_unused:UNUSED_PAD src0_sel:DWORD src1_sel:BYTE_3
	v_lshrrev_b32_e32 v10, 8, v3
	v_mul_lo_u16_e32 v13, v13, v3
	;; [unrolled: 5-line block ×5, first 2 shown]
	v_mul_lo_u16_e32 v13, v13, v7
	v_mul_lo_u16_sdwa v13, v13, v6 dst_sel:DWORD dst_unused:UNUSED_PAD src0_sel:DWORD src1_sel:WORD_1
	v_mul_lo_u16_sdwa v14, v13, v6 dst_sel:DWORD dst_unused:UNUSED_PAD src0_sel:DWORD src1_sel:BYTE_3
	v_mbcnt_lo_u32_b32 v13, -1, 0
	v_and_b32_e32 v16, 0xff, v14
	v_mbcnt_hi_u32_b32 v13, -1, v13
	v_and_b32_e32 v15, 15, v13
	v_mov_b32_dpp v17, v16 row_shr:1 row_mask:0xf bank_mask:0xf
	v_mul_lo_u16_e32 v17, v14, v17
	v_and_b32_e32 v18, 0xff, v17
	v_cmp_eq_u32_e32 vcc, 0, v15
	v_cndmask_b32_e32 v16, v18, v16, vcc
	v_cndmask_b32_e32 v14, v17, v14, vcc
	v_cmp_lt_u32_e32 vcc, 1, v15
	v_mov_b32_dpp v17, v16 row_shr:2 row_mask:0xf bank_mask:0xf
	v_mul_lo_u16_e32 v17, v14, v17
	v_and_b32_e32 v18, 0xff, v17
	v_cndmask_b32_e32 v16, v16, v18, vcc
	v_cndmask_b32_e32 v14, v14, v17, vcc
	v_cmp_lt_u32_e32 vcc, 3, v15
	v_mov_b32_dpp v17, v16 row_shr:4 row_mask:0xf bank_mask:0xf
	v_mul_lo_u16_e32 v17, v14, v17
	v_and_b32_e32 v18, 0xff, v17
	;; [unrolled: 6-line block ×3, first 2 shown]
	v_cndmask_b32_e32 v15, v16, v18, vcc
	v_cndmask_b32_e32 v14, v14, v17, vcc
	v_and_b32_e32 v17, 16, v13
	v_mov_b32_dpp v16, v15 row_bcast:15 row_mask:0xf bank_mask:0xf
	v_mul_lo_u16_e32 v16, v14, v16
	v_and_b32_e32 v18, 0xff, v16
	v_cmp_eq_u32_e32 vcc, 0, v17
	v_cndmask_b32_e32 v15, v18, v15, vcc
	v_cndmask_b32_e32 v14, v16, v14, vcc
	v_cmp_lt_u32_e32 vcc, 31, v13
	v_mov_b32_dpp v15, v15 row_bcast:31 row_mask:0xf bank_mask:0xf
	v_cndmask_b32_e32 v15, 1, v15, vcc
	v_mul_lo_u16_e32 v15, v14, v15
	v_or_b32_e32 v14, 63, v0
	v_lshrrev_b32_e32 v16, 6, v0
	v_cmp_eq_u32_e32 vcc, v0, v14
	s_and_saveexec_b64 s[52:53], vcc
; %bb.49:
	ds_write_b8 v16, v15
; %bb.50:
	s_or_b64 exec, exec, s[52:53]
	v_cmp_gt_u32_e32 vcc, 4, v0
	s_waitcnt lgkmcnt(0)
	s_barrier
	s_and_saveexec_b64 s[52:53], vcc
	s_cbranch_execz .LBB5_52
; %bb.51:
	ds_read_u8 v14, v0
	v_and_b32_e32 v17, 3, v13
	v_cmp_eq_u32_e32 vcc, 0, v17
	s_waitcnt lgkmcnt(0)
	v_and_b32_e32 v18, 0xff, v14
	s_nop 1
	v_mov_b32_dpp v19, v18 row_shr:1 row_mask:0xf bank_mask:0xf
	v_mul_lo_u16_e32 v19, v14, v19
	v_cndmask_b32_sdwa v18, v19, v18, vcc dst_sel:DWORD dst_unused:UNUSED_PAD src0_sel:BYTE_0 src1_sel:DWORD
	v_cndmask_b32_e32 v14, v19, v14, vcc
	v_cmp_lt_u32_e32 vcc, 1, v17
	v_mov_b32_dpp v18, v18 row_shr:2 row_mask:0xf bank_mask:0xf
	v_cndmask_b32_e32 v17, 1, v18, vcc
	v_mul_lo_u16_e32 v14, v14, v17
	ds_write_b8 v0, v14
.LBB5_52:
	s_or_b64 exec, exec, s[52:53]
	v_mul_u32_u24_e32 v14, 23, v0
	v_cmp_lt_u32_e32 vcc, 63, v0
	s_waitcnt lgkmcnt(0)
	s_barrier
                                        ; implicit-def: $vgpr17
	s_and_saveexec_b64 s[52:53], vcc
	s_cbranch_execz .LBB5_54
; %bb.53:
	v_add_u32_e32 v16, -1, v16
	ds_read_u8 v17, v16
	s_waitcnt lgkmcnt(0)
	v_mul_lo_u16_e32 v15, v17, v15
.LBB5_54:
	s_or_b64 exec, exec, s[52:53]
	v_subrev_co_u32_e32 v16, vcc, 1, v13
	v_and_b32_e32 v18, 64, v13
	v_cmp_lt_i32_e64 s[52:53], v16, v18
	v_cndmask_b32_e64 v13, v16, v13, s[52:53]
	v_lshlrev_b32_e32 v13, 2, v13
	v_and_b32_e32 v15, 0xff, v15
	ds_bpermute_b32 v13, v13, v15
	s_waitcnt lgkmcnt(0)
	s_barrier
	s_load_dwordx2 s[4:5], s[4:5], 0x18
	v_cndmask_b32_e32 v13, v13, v17, vcc
	v_cmp_ne_u32_e32 vcc, 0, v0
	v_cndmask_b32_e32 v13, 1, v13, vcc
	v_mul_lo_u16_e32 v13, v13, v1
	v_mul_lo_u16_e32 v12, v13, v12
	v_mul_lo_u16_sdwa v15, v12, v1 dst_sel:DWORD dst_unused:UNUSED_PAD src0_sel:DWORD src1_sel:WORD_1
	v_mul_lo_u16_sdwa v1, v15, v1 dst_sel:DWORD dst_unused:UNUSED_PAD src0_sel:DWORD src1_sel:BYTE_3
	v_mul_lo_u16_e32 v16, v1, v2
	v_mul_lo_u16_e32 v11, v16, v11
	v_mul_lo_u16_sdwa v17, v11, v2 dst_sel:DWORD dst_unused:UNUSED_PAD src0_sel:DWORD src1_sel:WORD_1
	v_mul_lo_u16_sdwa v2, v17, v2 dst_sel:DWORD dst_unused:UNUSED_PAD src0_sel:DWORD src1_sel:BYTE_3
	;; [unrolled: 4-line block ×3, first 2 shown]
	v_mul_lo_u16_e32 v20, v3, v4
	v_mul_lo_u16_e32 v9, v20, v9
	v_mul_lo_u16_sdwa v21, v9, v4 dst_sel:DWORD dst_unused:UNUSED_PAD src0_sel:DWORD src1_sel:WORD_1
	v_lshlrev_b16_e32 v12, 8, v12
	v_lshlrev_b16_e32 v1, 8, v1
	;; [unrolled: 1-line block ×4, first 2 shown]
	v_mul_lo_u16_sdwa v4, v21, v4 dst_sel:DWORD dst_unused:UNUSED_PAD src0_sel:DWORD src1_sel:BYTE_3
	v_or_b32_sdwa v12, v13, v12 dst_sel:DWORD dst_unused:UNUSED_PAD src0_sel:BYTE_0 src1_sel:DWORD
	v_or_b32_sdwa v1, v15, v1 dst_sel:WORD_1 dst_unused:UNUSED_PAD src0_sel:BYTE_0 src1_sel:DWORD
	v_or_b32_sdwa v11, v16, v11 dst_sel:DWORD dst_unused:UNUSED_PAD src0_sel:BYTE_0 src1_sel:DWORD
	v_or_b32_sdwa v2, v17, v2 dst_sel:WORD_1 dst_unused:UNUSED_PAD src0_sel:BYTE_0 src1_sel:DWORD
	v_or_b32_sdwa v1, v12, v1 dst_sel:DWORD dst_unused:UNUSED_PAD src0_sel:WORD_0 src1_sel:DWORD
	v_or_b32_sdwa v2, v11, v2 dst_sel:DWORD dst_unused:UNUSED_PAD src0_sel:WORD_0 src1_sel:DWORD
	v_lshlrev_b16_e32 v9, 8, v9
	v_lshlrev_b16_e32 v11, 8, v4
	v_mul_lo_u16_e32 v12, v4, v5
	v_lshlrev_b16_e32 v10, 8, v10
	v_lshlrev_b16_e32 v3, 8, v3
	v_or_b32_sdwa v9, v20, v9 dst_sel:DWORD dst_unused:UNUSED_PAD src0_sel:BYTE_0 src1_sel:DWORD
	v_or_b32_sdwa v11, v21, v11 dst_sel:WORD_1 dst_unused:UNUSED_PAD src0_sel:BYTE_0 src1_sel:DWORD
	v_mul_lo_u16_e32 v8, v12, v8
	v_or_b32_sdwa v10, v18, v10 dst_sel:DWORD dst_unused:UNUSED_PAD src0_sel:BYTE_0 src1_sel:DWORD
	v_or_b32_sdwa v3, v19, v3 dst_sel:WORD_1 dst_unused:UNUSED_PAD src0_sel:BYTE_0 src1_sel:DWORD
	v_or_b32_sdwa v4, v9, v11 dst_sel:DWORD dst_unused:UNUSED_PAD src0_sel:WORD_0 src1_sel:DWORD
	v_mul_lo_u16_sdwa v9, v8, v5 dst_sel:DWORD dst_unused:UNUSED_PAD src0_sel:DWORD src1_sel:WORD_1
	v_or_b32_sdwa v3, v10, v3 dst_sel:DWORD dst_unused:UNUSED_PAD src0_sel:WORD_0 src1_sel:DWORD
	v_mul_lo_u16_sdwa v5, v9, v5 dst_sel:DWORD dst_unused:UNUSED_PAD src0_sel:DWORD src1_sel:BYTE_3
	v_add_u32_e32 v10, v0, v14
	ds_write2_b64 v10, v[1:2], v[3:4] offset1:1
	v_mul_lo_u16_e32 v2, v5, v6
	v_mul_lo_u16_e32 v3, v2, v7
	v_mul_lo_u16_sdwa v4, v3, v6 dst_sel:DWORD dst_unused:UNUSED_PAD src0_sel:DWORD src1_sel:WORD_1
	v_mul_lo_u16_sdwa v6, v4, v6 dst_sel:BYTE_1 dst_unused:UNUSED_PAD src0_sel:DWORD src1_sel:BYTE_3
	v_lshlrev_b16_e32 v1, 8, v8
	v_lshlrev_b16_e32 v5, 8, v5
	;; [unrolled: 1-line block ×3, first 2 shown]
	v_or_b32_sdwa v1, v12, v1 dst_sel:DWORD dst_unused:UNUSED_PAD src0_sel:BYTE_0 src1_sel:DWORD
	v_or_b32_sdwa v5, v9, v5 dst_sel:WORD_1 dst_unused:UNUSED_PAD src0_sel:BYTE_0 src1_sel:DWORD
	v_or_b32_sdwa v2, v2, v3 dst_sel:DWORD dst_unused:UNUSED_PAD src0_sel:BYTE_0 src1_sel:DWORD
	v_or_b32_sdwa v3, v4, v6 dst_sel:WORD_1 dst_unused:UNUSED_PAD src0_sel:BYTE_0 src1_sel:DWORD
	v_or_b32_sdwa v1, v1, v5 dst_sel:DWORD dst_unused:UNUSED_PAD src0_sel:WORD_0 src1_sel:DWORD
	v_or_b32_sdwa v2, v2, v3 dst_sel:DWORD dst_unused:UNUSED_PAD src0_sel:WORD_0 src1_sel:DWORD
	ds_write_b64 v10, v[1:2] offset:16
	s_waitcnt lgkmcnt(0)
	s_barrier
	ds_read_u8 v25, v0 offset:256
	ds_read_u8 v24, v0 offset:512
	;; [unrolled: 1-line block ×23, first 2 shown]
	v_mov_b32_e32 v2, s5
	v_add_co_u32_e32 v1, vcc, s4, v0
	v_addc_co_u32_e32 v2, vcc, 0, v2, vcc
	s_and_saveexec_b64 s[4:5], s[0:1]
	s_cbranch_execnz .LBB5_79
; %bb.55:
	s_or_b64 exec, exec, s[4:5]
	s_and_saveexec_b64 s[0:1], s[2:3]
	s_cbranch_execnz .LBB5_80
.LBB5_56:
	s_or_b64 exec, exec, s[0:1]
	s_and_saveexec_b64 s[0:1], s[6:7]
	s_cbranch_execnz .LBB5_81
.LBB5_57:
	s_or_b64 exec, exec, s[0:1]
	s_and_saveexec_b64 s[0:1], s[8:9]
	s_cbranch_execnz .LBB5_82
.LBB5_58:
	s_or_b64 exec, exec, s[0:1]
	s_and_saveexec_b64 s[0:1], s[10:11]
	s_cbranch_execnz .LBB5_83
.LBB5_59:
	s_or_b64 exec, exec, s[0:1]
	s_and_saveexec_b64 s[0:1], s[12:13]
	s_cbranch_execnz .LBB5_84
.LBB5_60:
	s_or_b64 exec, exec, s[0:1]
	s_and_saveexec_b64 s[0:1], s[14:15]
	s_cbranch_execnz .LBB5_85
.LBB5_61:
	s_or_b64 exec, exec, s[0:1]
	s_and_saveexec_b64 s[0:1], s[16:17]
	s_cbranch_execnz .LBB5_86
.LBB5_62:
	s_or_b64 exec, exec, s[0:1]
	s_and_saveexec_b64 s[0:1], s[18:19]
	s_cbranch_execnz .LBB5_87
.LBB5_63:
	s_or_b64 exec, exec, s[0:1]
	s_and_saveexec_b64 s[0:1], s[20:21]
	s_cbranch_execnz .LBB5_88
.LBB5_64:
	s_or_b64 exec, exec, s[0:1]
	s_and_saveexec_b64 s[0:1], s[22:23]
	s_cbranch_execnz .LBB5_89
.LBB5_65:
	s_or_b64 exec, exec, s[0:1]
	s_and_saveexec_b64 s[0:1], s[24:25]
	s_cbranch_execnz .LBB5_90
.LBB5_66:
	s_or_b64 exec, exec, s[0:1]
	s_and_saveexec_b64 s[0:1], s[26:27]
	s_cbranch_execnz .LBB5_91
.LBB5_67:
	s_or_b64 exec, exec, s[0:1]
	s_and_saveexec_b64 s[0:1], s[28:29]
	s_cbranch_execnz .LBB5_92
.LBB5_68:
	s_or_b64 exec, exec, s[0:1]
	s_and_saveexec_b64 s[0:1], s[30:31]
	s_cbranch_execnz .LBB5_93
.LBB5_69:
	s_or_b64 exec, exec, s[0:1]
	s_and_saveexec_b64 s[0:1], s[34:35]
	s_cbranch_execnz .LBB5_94
.LBB5_70:
	s_or_b64 exec, exec, s[0:1]
	s_and_saveexec_b64 s[0:1], s[36:37]
	s_cbranch_execnz .LBB5_95
.LBB5_71:
	s_or_b64 exec, exec, s[0:1]
	s_and_saveexec_b64 s[0:1], s[38:39]
	s_cbranch_execnz .LBB5_96
.LBB5_72:
	s_or_b64 exec, exec, s[0:1]
	s_and_saveexec_b64 s[0:1], s[40:41]
	s_cbranch_execnz .LBB5_97
.LBB5_73:
	s_or_b64 exec, exec, s[0:1]
	s_and_saveexec_b64 s[0:1], s[42:43]
	s_cbranch_execnz .LBB5_98
.LBB5_74:
	s_or_b64 exec, exec, s[0:1]
	s_and_saveexec_b64 s[0:1], s[44:45]
	s_cbranch_execnz .LBB5_99
.LBB5_75:
	s_or_b64 exec, exec, s[0:1]
	s_and_saveexec_b64 s[0:1], s[46:47]
	s_cbranch_execnz .LBB5_100
.LBB5_76:
	s_or_b64 exec, exec, s[0:1]
	s_and_saveexec_b64 s[0:1], s[48:49]
	s_cbranch_execnz .LBB5_101
.LBB5_77:
	s_or_b64 exec, exec, s[0:1]
	s_and_saveexec_b64 s[0:1], s[50:51]
	s_cbranch_execnz .LBB5_102
.LBB5_78:
	s_endpgm
.LBB5_79:
	ds_read_u8 v0, v0
	s_waitcnt lgkmcnt(0)
	global_store_byte v[1:2], v0, off
	s_or_b64 exec, exec, s[4:5]
	s_and_saveexec_b64 s[0:1], s[2:3]
	s_cbranch_execz .LBB5_56
.LBB5_80:
	s_waitcnt lgkmcnt(14)
	global_store_byte v[1:2], v25, off offset:256
	s_or_b64 exec, exec, s[0:1]
	s_and_saveexec_b64 s[0:1], s[6:7]
	s_cbranch_execz .LBB5_57
.LBB5_81:
	s_waitcnt lgkmcnt(14)
	global_store_byte v[1:2], v24, off offset:512
	s_or_b64 exec, exec, s[0:1]
	s_and_saveexec_b64 s[0:1], s[8:9]
	s_cbranch_execz .LBB5_58
.LBB5_82:
	s_waitcnt lgkmcnt(14)
	global_store_byte v[1:2], v23, off offset:768
	s_or_b64 exec, exec, s[0:1]
	s_and_saveexec_b64 s[0:1], s[10:11]
	s_cbranch_execz .LBB5_59
.LBB5_83:
	s_waitcnt lgkmcnt(14)
	global_store_byte v[1:2], v22, off offset:1024
	s_or_b64 exec, exec, s[0:1]
	s_and_saveexec_b64 s[0:1], s[12:13]
	s_cbranch_execz .LBB5_60
.LBB5_84:
	s_waitcnt lgkmcnt(14)
	global_store_byte v[1:2], v21, off offset:1280
	s_or_b64 exec, exec, s[0:1]
	s_and_saveexec_b64 s[0:1], s[14:15]
	s_cbranch_execz .LBB5_61
.LBB5_85:
	s_waitcnt lgkmcnt(14)
	global_store_byte v[1:2], v20, off offset:1536
	s_or_b64 exec, exec, s[0:1]
	s_and_saveexec_b64 s[0:1], s[16:17]
	s_cbranch_execz .LBB5_62
.LBB5_86:
	s_waitcnt lgkmcnt(14)
	global_store_byte v[1:2], v18, off offset:1792
	s_or_b64 exec, exec, s[0:1]
	s_and_saveexec_b64 s[0:1], s[18:19]
	s_cbranch_execz .LBB5_63
.LBB5_87:
	s_waitcnt lgkmcnt(14)
	global_store_byte v[1:2], v16, off offset:2048
	s_or_b64 exec, exec, s[0:1]
	s_and_saveexec_b64 s[0:1], s[20:21]
	s_cbranch_execz .LBB5_64
.LBB5_88:
	s_waitcnt lgkmcnt(14)
	global_store_byte v[1:2], v19, off offset:2304
	s_or_b64 exec, exec, s[0:1]
	s_and_saveexec_b64 s[0:1], s[22:23]
	s_cbranch_execz .LBB5_65
.LBB5_89:
	s_waitcnt lgkmcnt(13)
	global_store_byte v[1:2], v17, off offset:2560
	s_or_b64 exec, exec, s[0:1]
	s_and_saveexec_b64 s[0:1], s[24:25]
	s_cbranch_execz .LBB5_66
.LBB5_90:
	s_waitcnt lgkmcnt(12)
	global_store_byte v[1:2], v15, off offset:2816
	s_or_b64 exec, exec, s[0:1]
	s_and_saveexec_b64 s[0:1], s[26:27]
	s_cbranch_execz .LBB5_67
.LBB5_91:
	s_waitcnt lgkmcnt(11)
	global_store_byte v[1:2], v14, off offset:3072
	s_or_b64 exec, exec, s[0:1]
	s_and_saveexec_b64 s[0:1], s[28:29]
	s_cbranch_execz .LBB5_68
.LBB5_92:
	s_waitcnt lgkmcnt(10)
	global_store_byte v[1:2], v13, off offset:3328
	s_or_b64 exec, exec, s[0:1]
	s_and_saveexec_b64 s[0:1], s[30:31]
	s_cbranch_execz .LBB5_69
.LBB5_93:
	s_waitcnt lgkmcnt(9)
	global_store_byte v[1:2], v12, off offset:3584
	s_or_b64 exec, exec, s[0:1]
	s_and_saveexec_b64 s[0:1], s[34:35]
	s_cbranch_execz .LBB5_70
.LBB5_94:
	s_waitcnt lgkmcnt(8)
	global_store_byte v[1:2], v11, off offset:3840
	s_or_b64 exec, exec, s[0:1]
	s_and_saveexec_b64 s[0:1], s[36:37]
	s_cbranch_execz .LBB5_71
.LBB5_95:
	s_waitcnt lgkmcnt(8)
	v_add_co_u32_e32 v11, vcc, 0x1000, v1
	v_addc_co_u32_e32 v12, vcc, 0, v2, vcc
	s_waitcnt lgkmcnt(7)
	global_store_byte v[11:12], v10, off
	s_or_b64 exec, exec, s[0:1]
	s_and_saveexec_b64 s[0:1], s[38:39]
	s_cbranch_execz .LBB5_72
.LBB5_96:
	s_waitcnt lgkmcnt(7)
	v_add_co_u32_e32 v10, vcc, 0x1000, v1
	v_addc_co_u32_e32 v11, vcc, 0, v2, vcc
	s_waitcnt lgkmcnt(6)
	global_store_byte v[10:11], v9, off offset:256
	s_or_b64 exec, exec, s[0:1]
	s_and_saveexec_b64 s[0:1], s[40:41]
	s_cbranch_execz .LBB5_73
.LBB5_97:
	s_waitcnt lgkmcnt(6)
	v_add_co_u32_e32 v9, vcc, 0x1000, v1
	v_addc_co_u32_e32 v10, vcc, 0, v2, vcc
	s_waitcnt lgkmcnt(5)
	global_store_byte v[9:10], v8, off offset:512
	s_or_b64 exec, exec, s[0:1]
	s_and_saveexec_b64 s[0:1], s[42:43]
	s_cbranch_execz .LBB5_74
.LBB5_98:
	s_waitcnt lgkmcnt(5)
	v_add_co_u32_e32 v8, vcc, 0x1000, v1
	v_addc_co_u32_e32 v9, vcc, 0, v2, vcc
	s_waitcnt lgkmcnt(4)
	global_store_byte v[8:9], v7, off offset:768
	s_or_b64 exec, exec, s[0:1]
	s_and_saveexec_b64 s[0:1], s[44:45]
	s_cbranch_execz .LBB5_75
.LBB5_99:
	s_waitcnt lgkmcnt(4)
	v_add_co_u32_e32 v7, vcc, 0x1000, v1
	v_addc_co_u32_e32 v8, vcc, 0, v2, vcc
	s_waitcnt lgkmcnt(3)
	global_store_byte v[7:8], v6, off offset:1024
	s_or_b64 exec, exec, s[0:1]
	s_and_saveexec_b64 s[0:1], s[46:47]
	s_cbranch_execz .LBB5_76
.LBB5_100:
	s_waitcnt lgkmcnt(3)
	v_add_co_u32_e32 v6, vcc, 0x1000, v1
	v_addc_co_u32_e32 v7, vcc, 0, v2, vcc
	s_waitcnt lgkmcnt(2)
	global_store_byte v[6:7], v5, off offset:1280
	s_or_b64 exec, exec, s[0:1]
	s_and_saveexec_b64 s[0:1], s[48:49]
	s_cbranch_execz .LBB5_77
.LBB5_101:
	s_waitcnt lgkmcnt(2)
	v_add_co_u32_e32 v5, vcc, 0x1000, v1
	v_addc_co_u32_e32 v6, vcc, 0, v2, vcc
	s_waitcnt lgkmcnt(1)
	global_store_byte v[5:6], v4, off offset:1536
	s_or_b64 exec, exec, s[0:1]
	s_and_saveexec_b64 s[0:1], s[50:51]
	s_cbranch_execz .LBB5_78
.LBB5_102:
	v_add_co_u32_e32 v0, vcc, 0x1000, v1
	v_addc_co_u32_e32 v1, vcc, 0, v2, vcc
	s_waitcnt lgkmcnt(0)
	global_store_byte v[0:1], v3, off offset:1792
	s_endpgm
	.section	.rodata,"a",@progbits
	.p2align	6, 0x0
	.amdhsa_kernel _ZN7rocprim17ROCPRIM_304000_NS6detail18single_scan_kernelILb0ENS1_19wrapped_scan_configINS0_14default_configEhEEPKhPhSt10multipliesIhEhhEEvT1_mT4_T2_T3_
		.amdhsa_group_segment_fixed_size 6144
		.amdhsa_private_segment_fixed_size 0
		.amdhsa_kernarg_size 36
		.amdhsa_user_sgpr_count 6
		.amdhsa_user_sgpr_private_segment_buffer 1
		.amdhsa_user_sgpr_dispatch_ptr 0
		.amdhsa_user_sgpr_queue_ptr 0
		.amdhsa_user_sgpr_kernarg_segment_ptr 1
		.amdhsa_user_sgpr_dispatch_id 0
		.amdhsa_user_sgpr_flat_scratch_init 0
		.amdhsa_user_sgpr_private_segment_size 0
		.amdhsa_uses_dynamic_stack 0
		.amdhsa_system_sgpr_private_segment_wavefront_offset 0
		.amdhsa_system_sgpr_workgroup_id_x 1
		.amdhsa_system_sgpr_workgroup_id_y 0
		.amdhsa_system_sgpr_workgroup_id_z 0
		.amdhsa_system_sgpr_workgroup_info 0
		.amdhsa_system_vgpr_workitem_id 0
		.amdhsa_next_free_vgpr 26
		.amdhsa_next_free_sgpr 54
		.amdhsa_reserve_vcc 1
		.amdhsa_reserve_flat_scratch 0
		.amdhsa_float_round_mode_32 0
		.amdhsa_float_round_mode_16_64 0
		.amdhsa_float_denorm_mode_32 3
		.amdhsa_float_denorm_mode_16_64 3
		.amdhsa_dx10_clamp 1
		.amdhsa_ieee_mode 1
		.amdhsa_fp16_overflow 0
		.amdhsa_exception_fp_ieee_invalid_op 0
		.amdhsa_exception_fp_denorm_src 0
		.amdhsa_exception_fp_ieee_div_zero 0
		.amdhsa_exception_fp_ieee_overflow 0
		.amdhsa_exception_fp_ieee_underflow 0
		.amdhsa_exception_fp_ieee_inexact 0
		.amdhsa_exception_int_div_zero 0
	.end_amdhsa_kernel
	.section	.text._ZN7rocprim17ROCPRIM_304000_NS6detail18single_scan_kernelILb0ENS1_19wrapped_scan_configINS0_14default_configEhEEPKhPhSt10multipliesIhEhhEEvT1_mT4_T2_T3_,"axG",@progbits,_ZN7rocprim17ROCPRIM_304000_NS6detail18single_scan_kernelILb0ENS1_19wrapped_scan_configINS0_14default_configEhEEPKhPhSt10multipliesIhEhhEEvT1_mT4_T2_T3_,comdat
.Lfunc_end5:
	.size	_ZN7rocprim17ROCPRIM_304000_NS6detail18single_scan_kernelILb0ENS1_19wrapped_scan_configINS0_14default_configEhEEPKhPhSt10multipliesIhEhhEEvT1_mT4_T2_T3_, .Lfunc_end5-_ZN7rocprim17ROCPRIM_304000_NS6detail18single_scan_kernelILb0ENS1_19wrapped_scan_configINS0_14default_configEhEEPKhPhSt10multipliesIhEhhEEvT1_mT4_T2_T3_
                                        ; -- End function
	.set _ZN7rocprim17ROCPRIM_304000_NS6detail18single_scan_kernelILb0ENS1_19wrapped_scan_configINS0_14default_configEhEEPKhPhSt10multipliesIhEhhEEvT1_mT4_T2_T3_.num_vgpr, 26
	.set _ZN7rocprim17ROCPRIM_304000_NS6detail18single_scan_kernelILb0ENS1_19wrapped_scan_configINS0_14default_configEhEEPKhPhSt10multipliesIhEhhEEvT1_mT4_T2_T3_.num_agpr, 0
	.set _ZN7rocprim17ROCPRIM_304000_NS6detail18single_scan_kernelILb0ENS1_19wrapped_scan_configINS0_14default_configEhEEPKhPhSt10multipliesIhEhhEEvT1_mT4_T2_T3_.numbered_sgpr, 54
	.set _ZN7rocprim17ROCPRIM_304000_NS6detail18single_scan_kernelILb0ENS1_19wrapped_scan_configINS0_14default_configEhEEPKhPhSt10multipliesIhEhhEEvT1_mT4_T2_T3_.num_named_barrier, 0
	.set _ZN7rocprim17ROCPRIM_304000_NS6detail18single_scan_kernelILb0ENS1_19wrapped_scan_configINS0_14default_configEhEEPKhPhSt10multipliesIhEhhEEvT1_mT4_T2_T3_.private_seg_size, 0
	.set _ZN7rocprim17ROCPRIM_304000_NS6detail18single_scan_kernelILb0ENS1_19wrapped_scan_configINS0_14default_configEhEEPKhPhSt10multipliesIhEhhEEvT1_mT4_T2_T3_.uses_vcc, 1
	.set _ZN7rocprim17ROCPRIM_304000_NS6detail18single_scan_kernelILb0ENS1_19wrapped_scan_configINS0_14default_configEhEEPKhPhSt10multipliesIhEhhEEvT1_mT4_T2_T3_.uses_flat_scratch, 0
	.set _ZN7rocprim17ROCPRIM_304000_NS6detail18single_scan_kernelILb0ENS1_19wrapped_scan_configINS0_14default_configEhEEPKhPhSt10multipliesIhEhhEEvT1_mT4_T2_T3_.has_dyn_sized_stack, 0
	.set _ZN7rocprim17ROCPRIM_304000_NS6detail18single_scan_kernelILb0ENS1_19wrapped_scan_configINS0_14default_configEhEEPKhPhSt10multipliesIhEhhEEvT1_mT4_T2_T3_.has_recursion, 0
	.set _ZN7rocprim17ROCPRIM_304000_NS6detail18single_scan_kernelILb0ENS1_19wrapped_scan_configINS0_14default_configEhEEPKhPhSt10multipliesIhEhhEEvT1_mT4_T2_T3_.has_indirect_call, 0
	.section	.AMDGPU.csdata,"",@progbits
; Kernel info:
; codeLenInByte = 4020
; TotalNumSgprs: 58
; NumVgprs: 26
; ScratchSize: 0
; MemoryBound: 0
; FloatMode: 240
; IeeeMode: 1
; LDSByteSize: 6144 bytes/workgroup (compile time only)
; SGPRBlocks: 7
; VGPRBlocks: 6
; NumSGPRsForWavesPerEU: 58
; NumVGPRsForWavesPerEU: 26
; Occupancy: 9
; WaveLimiterHint : 0
; COMPUTE_PGM_RSRC2:SCRATCH_EN: 0
; COMPUTE_PGM_RSRC2:USER_SGPR: 6
; COMPUTE_PGM_RSRC2:TRAP_HANDLER: 0
; COMPUTE_PGM_RSRC2:TGID_X_EN: 1
; COMPUTE_PGM_RSRC2:TGID_Y_EN: 0
; COMPUTE_PGM_RSRC2:TGID_Z_EN: 0
; COMPUTE_PGM_RSRC2:TIDIG_COMP_CNT: 0
	.section	.text._ZN2at6native32tensor_kernel_scan_innermost_dimIhSt10multipliesIhEEEvPT_PKS4_jjjS4_T0_,"axG",@progbits,_ZN2at6native32tensor_kernel_scan_innermost_dimIhSt10multipliesIhEEEvPT_PKS4_jjjS4_T0_,comdat
	.protected	_ZN2at6native32tensor_kernel_scan_innermost_dimIhSt10multipliesIhEEEvPT_PKS4_jjjS4_T0_ ; -- Begin function _ZN2at6native32tensor_kernel_scan_innermost_dimIhSt10multipliesIhEEEvPT_PKS4_jjjS4_T0_
	.globl	_ZN2at6native32tensor_kernel_scan_innermost_dimIhSt10multipliesIhEEEvPT_PKS4_jjjS4_T0_
	.p2align	8
	.type	_ZN2at6native32tensor_kernel_scan_innermost_dimIhSt10multipliesIhEEEvPT_PKS4_jjjS4_T0_,@function
_ZN2at6native32tensor_kernel_scan_innermost_dimIhSt10multipliesIhEEEvPT_PKS4_jjjS4_T0_: ; @_ZN2at6native32tensor_kernel_scan_innermost_dimIhSt10multipliesIhEEEvPT_PKS4_jjjS4_T0_
; %bb.0:
	s_load_dwordx8 s[12:19], s[4:5], 0x0
	v_mov_b32_e32 v2, v1
	s_waitcnt lgkmcnt(0)
	s_lshl_b32 s7, 2, s18
	v_mul_lo_u32 v1, s7, v2
	s_mul_hi_u32 s0, s16, s17
	s_cmp_lg_u32 s0, 0
	s_mov_b64 s[0:1], -1
	v_add_u32_e32 v14, 0, v1
	s_cbranch_scc1 .LBB6_26
; %bb.1:
	s_load_dword s2, s[4:5], 0x2c
	s_add_u32 s0, s4, 32
	s_addc_u32 s1, s5, 0
	s_waitcnt lgkmcnt(0)
	s_lshr_b32 s2, s2, 16
	s_mul_i32 s24, s6, s2
	s_cmp_ge_u32 s24, s16
	s_cbranch_scc1 .LBB6_25
; %bb.2:
	s_load_dword s25, s[0:1], 0x0
	s_cmp_lg_u32 s17, 0
	s_cselect_b64 s[8:9], -1, 0
	v_lshl_add_u32 v1, 1, s18, v0
	v_cndmask_b32_e64 v4, 0, 1, s[8:9]
	v_cmp_eq_u32_e64 s[0:1], 0, v0
	v_add3_u32 v3, v14, s7, -1
	s_waitcnt lgkmcnt(0)
	s_mul_i32 s25, s25, s2
	s_add_i32 s26, s18, 1
	v_cmp_ne_u32_e64 s[2:3], 1, v4
	v_add_u32_e32 v4, v14, v0
	v_add_u32_e32 v5, v14, v1
	s_branch .LBB6_4
.LBB6_3:                                ;   in Loop: Header=BB6_4 Depth=1
	s_add_i32 s24, s24, s25
	s_cmp_ge_u32 s24, s16
	s_cbranch_scc1 .LBB6_25
.LBB6_4:                                ; =>This Loop Header: Depth=1
                                        ;     Child Loop BB6_7 Depth 2
                                        ;       Child Loop BB6_16 Depth 3
	s_and_b64 vcc, exec, s[2:3]
	s_cbranch_vccnz .LBB6_3
; %bb.5:                                ;   in Loop: Header=BB6_4 Depth=1
	v_add_u32_e32 v10, s24, v2
	v_mul_lo_u32 v8, v10, s17
	v_mov_b32_e32 v7, s15
	v_mov_b32_e32 v9, s13
	v_cmp_le_u32_e64 s[8:9], s16, v10
	v_add_co_u32_e32 v6, vcc, s14, v8
	v_addc_co_u32_e32 v7, vcc, 0, v7, vcc
	v_add_co_u32_e32 v8, vcc, s12, v8
	v_addc_co_u32_e32 v9, vcc, 0, v9, vcc
	v_cmp_gt_u32_e32 vcc, s16, v10
	s_mov_b32 s27, 0
	v_mov_b32_e32 v12, s19
	s_branch .LBB6_7
.LBB6_6:                                ;   in Loop: Header=BB6_7 Depth=2
	s_or_b64 exec, exec, s[20:21]
	ds_read_u8 v12, v3
	s_add_i32 s27, s27, s7
	s_cmp_ge_u32 s27, s17
	s_waitcnt vmcnt(0) lgkmcnt(0)
	s_barrier
	s_cbranch_scc1 .LBB6_3
.LBB6_7:                                ;   Parent Loop BB6_4 Depth=1
                                        ; =>  This Loop Header: Depth=2
                                        ;       Child Loop BB6_16 Depth 3
	v_add_u32_e32 v11, s27, v0
	v_add_u32_e32 v10, s27, v1
	s_and_saveexec_b64 s[20:21], vcc
	s_cbranch_execz .LBB6_14
; %bb.8:                                ;   in Loop: Header=BB6_7 Depth=2
	v_cmp_gt_u32_e64 s[10:11], s17, v11
	v_mov_b32_e32 v13, s19
	s_and_saveexec_b64 s[22:23], s[10:11]
	s_cbranch_execz .LBB6_10
; %bb.9:                                ;   in Loop: Header=BB6_7 Depth=2
	v_add_co_u32_e64 v15, s[10:11], v6, v11
	v_addc_co_u32_e64 v16, s[10:11], 0, v7, s[10:11]
	global_load_ubyte v13, v[15:16], off
.LBB6_10:                               ;   in Loop: Header=BB6_7 Depth=2
	s_or_b64 exec, exec, s[22:23]
	s_waitcnt vmcnt(0)
	ds_write_b8 v4, v13
	v_cmp_gt_u32_e64 s[10:11], s17, v10
	v_mov_b32_e32 v13, s19
	s_and_saveexec_b64 s[22:23], s[10:11]
	s_cbranch_execz .LBB6_12
; %bb.11:                               ;   in Loop: Header=BB6_7 Depth=2
	v_add_co_u32_e64 v15, s[10:11], v6, v10
	v_addc_co_u32_e64 v16, s[10:11], 0, v7, s[10:11]
	global_load_ubyte v13, v[15:16], off
.LBB6_12:                               ;   in Loop: Header=BB6_7 Depth=2
	s_or_b64 exec, exec, s[22:23]
	s_waitcnt vmcnt(0)
	ds_write_b8 v5, v13
	s_and_b64 exec, exec, s[0:1]
	s_cbranch_execz .LBB6_14
; %bb.13:                               ;   in Loop: Header=BB6_7 Depth=2
	ds_read_u8 v13, v14
	s_waitcnt lgkmcnt(0)
	v_mul_lo_u16_e32 v12, v13, v12
	ds_write_b8 v14, v12
.LBB6_14:                               ;   in Loop: Header=BB6_7 Depth=2
	s_or_b64 exec, exec, s[20:21]
	v_mov_b32_e32 v12, 0
	s_mov_b64 s[20:21], 0
	s_waitcnt lgkmcnt(0)
	s_barrier
	s_branch .LBB6_16
.LBB6_15:                               ;   in Loop: Header=BB6_16 Depth=3
	s_or_b64 exec, exec, s[10:11]
	v_cmp_eq_u32_e64 s[10:11], s26, v12
	s_or_b64 s[20:21], s[10:11], s[20:21]
	s_waitcnt lgkmcnt(0)
	s_barrier
	s_andn2_b64 exec, exec, s[20:21]
	s_cbranch_execz .LBB6_20
.LBB6_16:                               ;   Parent Loop BB6_4 Depth=1
                                        ;     Parent Loop BB6_7 Depth=2
                                        ; =>    This Inner Loop Header: Depth=3
	v_add_u32_e32 v13, 1, v12
	s_and_saveexec_b64 s[10:11], s[8:9]
	s_xor_b64 s[10:11], exec, s[10:11]
; %bb.17:                               ;   in Loop: Header=BB6_16 Depth=3
	v_add_u32_e32 v12, 1, v12
                                        ; implicit-def: $vgpr13
; %bb.18:                               ;   in Loop: Header=BB6_16 Depth=3
	s_andn2_saveexec_b64 s[10:11], s[10:11]
	s_cbranch_execz .LBB6_15
; %bb.19:                               ;   in Loop: Header=BB6_16 Depth=3
	v_lshlrev_b32_e64 v15, v12, 1
	v_lshrrev_b32_e32 v16, v12, v0
	v_lshl_or_b32 v15, v16, v13, v15
	v_bfm_b32 v12, v12, 0
	v_and_b32_e32 v12, v12, v0
	v_add_u32_e32 v15, v14, v15
	v_add_u32_e32 v12, v15, v12
	v_add_u32_e32 v15, -1, v15
	ds_read_u8 v16, v12
	ds_read_u8 v15, v15
	s_waitcnt lgkmcnt(0)
	v_mul_lo_u16_e32 v15, v15, v16
	ds_write_b8 v12, v15
	v_mov_b32_e32 v12, v13
	s_branch .LBB6_15
.LBB6_20:                               ;   in Loop: Header=BB6_7 Depth=2
	s_or_b64 exec, exec, s[20:21]
	s_and_saveexec_b64 s[20:21], vcc
	s_cbranch_execz .LBB6_6
; %bb.21:                               ;   in Loop: Header=BB6_7 Depth=2
	v_cmp_gt_u32_e64 s[10:11], s17, v11
	s_and_saveexec_b64 s[22:23], s[10:11]
	s_cbranch_execz .LBB6_23
; %bb.22:                               ;   in Loop: Header=BB6_7 Depth=2
	ds_read_u8 v13, v4
	v_add_co_u32_e64 v11, s[10:11], v8, v11
	v_addc_co_u32_e64 v12, s[10:11], 0, v9, s[10:11]
	s_waitcnt lgkmcnt(0)
	global_store_byte v[11:12], v13, off
.LBB6_23:                               ;   in Loop: Header=BB6_7 Depth=2
	s_or_b64 exec, exec, s[22:23]
	v_cmp_gt_u32_e64 s[10:11], s17, v10
	s_and_b64 exec, exec, s[10:11]
	s_cbranch_execz .LBB6_6
; %bb.24:                               ;   in Loop: Header=BB6_7 Depth=2
	ds_read_u8 v12, v5
	v_add_co_u32_e64 v10, s[10:11], v8, v10
	v_addc_co_u32_e64 v11, s[10:11], 0, v9, s[10:11]
	s_waitcnt lgkmcnt(0)
	global_store_byte v[10:11], v12, off
	s_branch .LBB6_6
.LBB6_25:
	s_mov_b64 s[0:1], 0
.LBB6_26:
	s_andn2_b64 vcc, exec, s[0:1]
	s_cbranch_vccnz .LBB6_53
; %bb.27:
	s_load_dword s2, s[4:5], 0x2c
	s_add_u32 s0, s4, 32
	s_mov_b32 s8, s16
	s_mov_b32 s9, 0
	s_addc_u32 s1, s5, 0
	s_waitcnt lgkmcnt(0)
	s_lshr_b32 s2, s2, 16
	v_mov_b32_e32 v3, s8
	s_mul_hi_u32 s11, s2, s6
	s_mul_i32 s10, s2, s6
	v_mov_b32_e32 v4, s9
	v_cmp_ge_u64_e32 vcc, s[10:11], v[3:4]
	s_cbranch_vccnz .LBB6_53
; %bb.28:
	s_lshl_b32 s20, 1, s18
	s_load_dword s5, s[0:1], 0x0
	s_and_b32 s4, 0xffff, s2
	s_ashr_i32 s21, s20, 31
	s_cmp_lg_u32 s17, 0
	s_cselect_b64 s[2:3], -1, 0
	s_mov_b32 s22, s17
	s_lshl_b64 s[16:17], s[20:21], 1
	v_cndmask_b32_e64 v3, 0, 1, s[2:3]
	v_mov_b32_e32 v1, 0
	s_mov_b32 s23, s9
	v_add_u32_e32 v15, s20, v14
	v_cmp_eq_u32_e64 s[0:1], 0, v0
	v_add3_u32 v16, v14, s16, -1
	s_waitcnt lgkmcnt(0)
	s_mul_i32 s33, s5, s4
	s_add_i32 s18, s18, 1
	v_cmp_ne_u32_e64 s[2:3], 1, v3
	s_branch .LBB6_30
.LBB6_29:                               ;   in Loop: Header=BB6_30 Depth=1
	s_add_u32 s10, s10, s33
	v_mov_b32_e32 v3, s8
	s_addc_u32 s11, s11, 0
	v_mov_b32_e32 v4, s9
	v_cmp_ge_u64_e32 vcc, s[10:11], v[3:4]
	s_cbranch_vccnz .LBB6_53
.LBB6_30:                               ; =>This Loop Header: Depth=1
                                        ;     Child Loop BB6_33 Depth 2
                                        ;       Child Loop BB6_43 Depth 3
	s_and_b64 vcc, exec, s[2:3]
	s_cbranch_vccnz .LBB6_29
; %bb.31:                               ;   in Loop: Header=BB6_30 Depth=1
	v_mov_b32_e32 v3, s11
	v_add_co_u32_e32 v7, vcc, s10, v2
	v_addc_co_u32_e32 v8, vcc, 0, v3, vcc
	v_mov_b32_e32 v3, s14
	v_mov_b32_e32 v5, s12
	;; [unrolled: 1-line block ×4, first 2 shown]
	v_mad_u64_u32 v[3:4], s[4:5], v7, s22, v[3:4]
	v_mul_lo_u32 v9, v8, s22
	v_mad_u64_u32 v[5:6], s[4:5], v7, s22, v[5:6]
	v_cmp_gt_u64_e64 s[4:5], s[8:9], v[7:8]
	v_cmp_le_u64_e64 s[6:7], s[8:9], v[7:8]
	v_add_u32_e32 v4, v9, v4
	v_add_u32_e32 v6, v9, v6
	s_mov_b64 s[24:25], 0
	v_mov_b32_e32 v11, s19
	s_branch .LBB6_33
.LBB6_32:                               ;   in Loop: Header=BB6_33 Depth=2
	s_or_b64 exec, exec, s[26:27]
	ds_read_u8 v11, v16
	s_add_u32 s24, s24, s16
	v_mov_b32_e32 v7, s22
	s_addc_u32 s25, s25, s17
	v_mov_b32_e32 v8, s23
	v_cmp_ge_u64_e32 vcc, s[24:25], v[7:8]
	s_waitcnt lgkmcnt(0)
	s_waitcnt vmcnt(0)
	s_barrier
	s_cbranch_vccnz .LBB6_29
.LBB6_33:                               ;   Parent Loop BB6_30 Depth=1
                                        ; =>  This Loop Header: Depth=2
                                        ;       Child Loop BB6_43 Depth 3
	v_mov_b32_e32 v7, s25
	v_add_co_u32_e32 v9, vcc, s24, v0
	v_addc_co_u32_e32 v10, vcc, 0, v7, vcc
	v_mov_b32_e32 v8, s21
	v_add_co_u32_e32 v7, vcc, s20, v9
	v_addc_co_u32_e32 v8, vcc, v10, v8, vcc
	s_and_saveexec_b64 s[26:27], s[4:5]
	s_cbranch_execz .LBB6_40
; %bb.34:                               ;   in Loop: Header=BB6_33 Depth=2
	v_cmp_gt_u64_e32 vcc, s[22:23], v[9:10]
	v_mov_b32_e32 v12, s19
	s_and_saveexec_b64 s[28:29], vcc
	s_cbranch_execz .LBB6_36
; %bb.35:                               ;   in Loop: Header=BB6_33 Depth=2
	v_add_co_u32_e32 v12, vcc, v3, v9
	v_addc_co_u32_e32 v13, vcc, v4, v10, vcc
	global_load_ubyte v12, v[12:13], off
.LBB6_36:                               ;   in Loop: Header=BB6_33 Depth=2
	s_or_b64 exec, exec, s[28:29]
	v_add_u32_e32 v13, v14, v0
	v_cmp_gt_u64_e32 vcc, s[22:23], v[7:8]
	s_waitcnt vmcnt(0)
	ds_write_b8 v13, v12
	v_mov_b32_e32 v12, s19
	s_and_saveexec_b64 s[28:29], vcc
	s_cbranch_execz .LBB6_38
; %bb.37:                               ;   in Loop: Header=BB6_33 Depth=2
	v_add_co_u32_e32 v12, vcc, v3, v7
	v_addc_co_u32_e32 v13, vcc, v4, v8, vcc
	global_load_ubyte v12, v[12:13], off
.LBB6_38:                               ;   in Loop: Header=BB6_33 Depth=2
	s_or_b64 exec, exec, s[28:29]
	v_add_u32_e32 v13, v15, v0
	s_waitcnt vmcnt(0)
	ds_write_b8 v13, v12
	s_and_b64 exec, exec, s[0:1]
	s_cbranch_execz .LBB6_40
; %bb.39:                               ;   in Loop: Header=BB6_33 Depth=2
	ds_read_u8 v12, v14
	s_waitcnt lgkmcnt(0)
	v_mul_lo_u16_e32 v11, v12, v11
	ds_write_b8 v14, v11
.LBB6_40:                               ;   in Loop: Header=BB6_33 Depth=2
	s_or_b64 exec, exec, s[26:27]
	v_mov_b32_e32 v18, 0
	s_mov_b64 s[26:27], 0
	s_waitcnt lgkmcnt(0)
	s_barrier
	s_branch .LBB6_43
.LBB6_41:                               ;   in Loop: Header=BB6_43 Depth=3
	s_or_b64 exec, exec, s[30:31]
	v_lshrrev_b32_e32 v13, v18, v0
	v_lshl_or_b32 v11, v13, v17, v11
	v_add_u32_e32 v11, v14, v11
	v_add_u32_e32 v12, v11, v12
	v_add_u32_e32 v11, -1, v11
	ds_read_u8 v13, v12
	ds_read_u8 v11, v11
	s_waitcnt lgkmcnt(0)
	v_mul_lo_u16_e32 v11, v11, v13
	ds_write_b8 v12, v11
.LBB6_42:                               ;   in Loop: Header=BB6_43 Depth=3
	s_or_b64 exec, exec, s[28:29]
	v_cmp_eq_u32_e32 vcc, s18, v17
	s_or_b64 s[26:27], vcc, s[26:27]
	v_mov_b32_e32 v18, v17
	s_waitcnt lgkmcnt(0)
	s_barrier
	s_andn2_b64 exec, exec, s[26:27]
	s_cbranch_execz .LBB6_48
.LBB6_43:                               ;   Parent Loop BB6_30 Depth=1
                                        ;     Parent Loop BB6_33 Depth=2
                                        ; =>    This Inner Loop Header: Depth=3
	v_add_u32_e32 v17, 1, v18
	s_and_saveexec_b64 s[28:29], s[6:7]
	s_xor_b64 s[28:29], exec, s[28:29]
; %bb.44:                               ;   in Loop: Header=BB6_43 Depth=3
	v_add_u32_e32 v17, 1, v18
                                        ; implicit-def: $vgpr18
; %bb.45:                               ;   in Loop: Header=BB6_43 Depth=3
	s_andn2_saveexec_b64 s[28:29], s[28:29]
	s_cbranch_execz .LBB6_42
; %bb.46:                               ;   in Loop: Header=BB6_43 Depth=3
	v_lshlrev_b32_e64 v11, v18, 1
	v_ashrrev_i32_e32 v12, 31, v11
	v_cmp_ge_u64_e32 vcc, v[0:1], v[11:12]
	v_mov_b32_e32 v13, v1
	v_mov_b32_e32 v12, v0
	s_and_saveexec_b64 s[30:31], vcc
	s_cbranch_execz .LBB6_41
; %bb.47:                               ;   in Loop: Header=BB6_43 Depth=3
	v_cvt_f32_u32_e32 v12, v11
	v_sub_u32_e32 v13, 0, v11
	v_rcp_iflag_f32_e32 v12, v12
	v_mul_f32_e32 v12, 0x4f7ffffe, v12
	v_cvt_u32_f32_e32 v12, v12
	v_mul_lo_u32 v13, v13, v12
	v_mul_hi_u32 v13, v12, v13
	v_add_u32_e32 v12, v12, v13
	v_mul_hi_u32 v12, v0, v12
	v_mul_lo_u32 v12, v12, v11
	v_sub_u32_e32 v12, v0, v12
	v_sub_u32_e32 v13, v12, v11
	v_cmp_ge_u32_e32 vcc, v12, v11
	v_cndmask_b32_e32 v12, v12, v13, vcc
	v_sub_u32_e32 v13, v12, v11
	v_cmp_ge_u32_e32 vcc, v12, v11
	v_cndmask_b32_e32 v12, v12, v13, vcc
	s_branch .LBB6_41
.LBB6_48:                               ;   in Loop: Header=BB6_33 Depth=2
	s_or_b64 exec, exec, s[26:27]
	s_and_saveexec_b64 s[26:27], s[4:5]
	s_cbranch_execz .LBB6_32
; %bb.49:                               ;   in Loop: Header=BB6_33 Depth=2
	v_cmp_gt_u64_e32 vcc, s[22:23], v[9:10]
	s_and_saveexec_b64 s[28:29], vcc
	s_cbranch_execz .LBB6_51
; %bb.50:                               ;   in Loop: Header=BB6_33 Depth=2
	v_add_u32_e32 v11, v14, v0
	ds_read_u8 v11, v11
	v_add_co_u32_e32 v9, vcc, v5, v9
	v_addc_co_u32_e32 v10, vcc, v6, v10, vcc
	s_waitcnt lgkmcnt(0)
	global_store_byte v[9:10], v11, off
.LBB6_51:                               ;   in Loop: Header=BB6_33 Depth=2
	s_or_b64 exec, exec, s[28:29]
	v_cmp_gt_u64_e32 vcc, s[22:23], v[7:8]
	s_and_b64 exec, exec, vcc
	s_cbranch_execz .LBB6_32
; %bb.52:                               ;   in Loop: Header=BB6_33 Depth=2
	v_add_u32_e32 v9, v15, v0
	ds_read_u8 v9, v9
	v_add_co_u32_e32 v7, vcc, v5, v7
	v_addc_co_u32_e32 v8, vcc, v6, v8, vcc
	s_waitcnt lgkmcnt(0)
	global_store_byte v[7:8], v9, off
	s_branch .LBB6_32
.LBB6_53:
	s_endpgm
	.section	.rodata,"a",@progbits
	.p2align	6, 0x0
	.amdhsa_kernel _ZN2at6native32tensor_kernel_scan_innermost_dimIhSt10multipliesIhEEEvPT_PKS4_jjjS4_T0_
		.amdhsa_group_segment_fixed_size 0
		.amdhsa_private_segment_fixed_size 0
		.amdhsa_kernarg_size 288
		.amdhsa_user_sgpr_count 6
		.amdhsa_user_sgpr_private_segment_buffer 1
		.amdhsa_user_sgpr_dispatch_ptr 0
		.amdhsa_user_sgpr_queue_ptr 0
		.amdhsa_user_sgpr_kernarg_segment_ptr 1
		.amdhsa_user_sgpr_dispatch_id 0
		.amdhsa_user_sgpr_flat_scratch_init 0
		.amdhsa_user_sgpr_private_segment_size 0
		.amdhsa_uses_dynamic_stack 0
		.amdhsa_system_sgpr_private_segment_wavefront_offset 0
		.amdhsa_system_sgpr_workgroup_id_x 1
		.amdhsa_system_sgpr_workgroup_id_y 0
		.amdhsa_system_sgpr_workgroup_id_z 0
		.amdhsa_system_sgpr_workgroup_info 0
		.amdhsa_system_vgpr_workitem_id 1
		.amdhsa_next_free_vgpr 19
		.amdhsa_next_free_sgpr 34
		.amdhsa_reserve_vcc 1
		.amdhsa_reserve_flat_scratch 0
		.amdhsa_float_round_mode_32 0
		.amdhsa_float_round_mode_16_64 0
		.amdhsa_float_denorm_mode_32 3
		.amdhsa_float_denorm_mode_16_64 3
		.amdhsa_dx10_clamp 1
		.amdhsa_ieee_mode 1
		.amdhsa_fp16_overflow 0
		.amdhsa_exception_fp_ieee_invalid_op 0
		.amdhsa_exception_fp_denorm_src 0
		.amdhsa_exception_fp_ieee_div_zero 0
		.amdhsa_exception_fp_ieee_overflow 0
		.amdhsa_exception_fp_ieee_underflow 0
		.amdhsa_exception_fp_ieee_inexact 0
		.amdhsa_exception_int_div_zero 0
	.end_amdhsa_kernel
	.section	.text._ZN2at6native32tensor_kernel_scan_innermost_dimIhSt10multipliesIhEEEvPT_PKS4_jjjS4_T0_,"axG",@progbits,_ZN2at6native32tensor_kernel_scan_innermost_dimIhSt10multipliesIhEEEvPT_PKS4_jjjS4_T0_,comdat
.Lfunc_end6:
	.size	_ZN2at6native32tensor_kernel_scan_innermost_dimIhSt10multipliesIhEEEvPT_PKS4_jjjS4_T0_, .Lfunc_end6-_ZN2at6native32tensor_kernel_scan_innermost_dimIhSt10multipliesIhEEEvPT_PKS4_jjjS4_T0_
                                        ; -- End function
	.set _ZN2at6native32tensor_kernel_scan_innermost_dimIhSt10multipliesIhEEEvPT_PKS4_jjjS4_T0_.num_vgpr, 19
	.set _ZN2at6native32tensor_kernel_scan_innermost_dimIhSt10multipliesIhEEEvPT_PKS4_jjjS4_T0_.num_agpr, 0
	.set _ZN2at6native32tensor_kernel_scan_innermost_dimIhSt10multipliesIhEEEvPT_PKS4_jjjS4_T0_.numbered_sgpr, 34
	.set _ZN2at6native32tensor_kernel_scan_innermost_dimIhSt10multipliesIhEEEvPT_PKS4_jjjS4_T0_.num_named_barrier, 0
	.set _ZN2at6native32tensor_kernel_scan_innermost_dimIhSt10multipliesIhEEEvPT_PKS4_jjjS4_T0_.private_seg_size, 0
	.set _ZN2at6native32tensor_kernel_scan_innermost_dimIhSt10multipliesIhEEEvPT_PKS4_jjjS4_T0_.uses_vcc, 1
	.set _ZN2at6native32tensor_kernel_scan_innermost_dimIhSt10multipliesIhEEEvPT_PKS4_jjjS4_T0_.uses_flat_scratch, 0
	.set _ZN2at6native32tensor_kernel_scan_innermost_dimIhSt10multipliesIhEEEvPT_PKS4_jjjS4_T0_.has_dyn_sized_stack, 0
	.set _ZN2at6native32tensor_kernel_scan_innermost_dimIhSt10multipliesIhEEEvPT_PKS4_jjjS4_T0_.has_recursion, 0
	.set _ZN2at6native32tensor_kernel_scan_innermost_dimIhSt10multipliesIhEEEvPT_PKS4_jjjS4_T0_.has_indirect_call, 0
	.section	.AMDGPU.csdata,"",@progbits
; Kernel info:
; codeLenInByte = 1612
; TotalNumSgprs: 38
; NumVgprs: 19
; ScratchSize: 0
; MemoryBound: 0
; FloatMode: 240
; IeeeMode: 1
; LDSByteSize: 0 bytes/workgroup (compile time only)
; SGPRBlocks: 4
; VGPRBlocks: 4
; NumSGPRsForWavesPerEU: 38
; NumVGPRsForWavesPerEU: 19
; Occupancy: 10
; WaveLimiterHint : 0
; COMPUTE_PGM_RSRC2:SCRATCH_EN: 0
; COMPUTE_PGM_RSRC2:USER_SGPR: 6
; COMPUTE_PGM_RSRC2:TRAP_HANDLER: 0
; COMPUTE_PGM_RSRC2:TGID_X_EN: 1
; COMPUTE_PGM_RSRC2:TGID_Y_EN: 0
; COMPUTE_PGM_RSRC2:TGID_Z_EN: 0
; COMPUTE_PGM_RSRC2:TIDIG_COMP_CNT: 1
	.section	.text._ZN2at6native28tensor_kernel_scan_outer_dimIhjSt10multipliesIhEEEvPT_PKS4_jjjS4_T1_,"axG",@progbits,_ZN2at6native28tensor_kernel_scan_outer_dimIhjSt10multipliesIhEEEvPT_PKS4_jjjS4_T1_,comdat
	.protected	_ZN2at6native28tensor_kernel_scan_outer_dimIhjSt10multipliesIhEEEvPT_PKS4_jjjS4_T1_ ; -- Begin function _ZN2at6native28tensor_kernel_scan_outer_dimIhjSt10multipliesIhEEEvPT_PKS4_jjjS4_T1_
	.globl	_ZN2at6native28tensor_kernel_scan_outer_dimIhjSt10multipliesIhEEEvPT_PKS4_jjjS4_T1_
	.p2align	8
	.type	_ZN2at6native28tensor_kernel_scan_outer_dimIhjSt10multipliesIhEEEvPT_PKS4_jjjS4_T1_,@function
_ZN2at6native28tensor_kernel_scan_outer_dimIhjSt10multipliesIhEEEvPT_PKS4_jjjS4_T1_: ; @_ZN2at6native28tensor_kernel_scan_outer_dimIhjSt10multipliesIhEEEvPT_PKS4_jjjS4_T1_
; %bb.0:
	s_load_dwordx4 s[8:11], s[4:5], 0x10
	s_waitcnt lgkmcnt(0)
	s_cmp_ge_u32 s6, s8
	s_cbranch_scc1 .LBB7_9
; %bb.1:
	s_load_dword s0, s[4:5], 0x2c
	s_load_dwordx4 s[12:15], s[4:5], 0x0
	s_load_dword s22, s[4:5], 0x20
	s_add_u32 s16, s4, 32
	s_addc_u32 s17, s5, 0
	s_waitcnt lgkmcnt(0)
	s_and_b32 s23, s0, 0xffff
	s_cmp_lg_u32 s10, 0
	s_mul_i32 s2, s6, s10
	s_mul_i32 s7, s7, s23
	;; [unrolled: 1-line block ×3, first 2 shown]
	s_cselect_b64 s[2:3], -1, 0
	v_add_u32_e32 v0, s7, v0
	s_mul_i32 s25, s22, s10
	v_cndmask_b32_e64 v1, 0, 1, s[2:3]
	v_cmp_gt_u32_e64 s[0:1], s9, v0
	s_mov_b32 s7, s9
	s_mul_i32 s25, s25, s9
	v_cmp_ne_u32_e64 s[2:3], 1, v1
	s_branch .LBB7_3
.LBB7_2:                                ;   in Loop: Header=BB7_3 Depth=1
	s_or_b64 exec, exec, s[18:19]
	s_add_i32 s6, s22, s6
	s_add_i32 s24, s24, s25
	s_cmp_ge_u32 s6, s8
	s_cbranch_scc1 .LBB7_9
.LBB7_3:                                ; =>This Loop Header: Depth=1
                                        ;     Child Loop BB7_6 Depth 2
                                        ;       Child Loop BB7_8 Depth 3
	s_and_saveexec_b64 s[18:19], s[0:1]
	s_cbranch_execz .LBB7_2
; %bb.4:                                ;   in Loop: Header=BB7_3 Depth=1
	s_load_dword s26, s[16:17], 0x4
	s_mov_b64 s[20:21], 0
	v_mov_b32_e32 v1, v0
	s_waitcnt lgkmcnt(0)
	s_mul_i32 s26, s26, s23
	s_branch .LBB7_6
.LBB7_5:                                ;   in Loop: Header=BB7_6 Depth=2
	v_add_u32_e32 v1, s26, v1
	v_cmp_le_u32_e32 vcc, s9, v1
	s_or_b64 s[20:21], vcc, s[20:21]
	s_andn2_b64 exec, exec, s[20:21]
	s_cbranch_execz .LBB7_2
.LBB7_6:                                ;   Parent Loop BB7_3 Depth=1
                                        ; =>  This Loop Header: Depth=2
                                        ;       Child Loop BB7_8 Depth 3
	s_and_b64 vcc, exec, s[2:3]
	s_cbranch_vccnz .LBB7_5
; %bb.7:                                ;   in Loop: Header=BB7_6 Depth=2
	v_add_co_u32_e32 v2, vcc, s24, v1
	v_addc_co_u32_e64 v3, s[4:5], 0, 0, vcc
	v_mov_b32_e32 v4, s11
	s_mov_b32 s27, s10
.LBB7_8:                                ;   Parent Loop BB7_3 Depth=1
                                        ;     Parent Loop BB7_6 Depth=2
                                        ; =>    This Inner Loop Header: Depth=3
	v_mov_b32_e32 v6, s15
	v_add_co_u32_e32 v5, vcc, s14, v2
	v_addc_co_u32_e32 v6, vcc, v6, v3, vcc
	global_load_ubyte v7, v[5:6], off
	v_mov_b32_e32 v6, s13
	v_add_co_u32_e32 v5, vcc, s12, v2
	s_add_i32 s27, s27, -1
	v_add_co_u32_e64 v2, s[4:5], s7, v2
	v_addc_co_u32_e32 v6, vcc, v6, v3, vcc
	v_addc_co_u32_e64 v3, vcc, 0, v3, s[4:5]
	s_cmp_eq_u32 s27, 0
	s_waitcnt vmcnt(0)
	v_mul_lo_u16_e32 v4, v7, v4
	global_store_byte v[5:6], v4, off
	s_cbranch_scc0 .LBB7_8
	s_branch .LBB7_5
.LBB7_9:
	s_endpgm
	.section	.rodata,"a",@progbits
	.p2align	6, 0x0
	.amdhsa_kernel _ZN2at6native28tensor_kernel_scan_outer_dimIhjSt10multipliesIhEEEvPT_PKS4_jjjS4_T1_
		.amdhsa_group_segment_fixed_size 0
		.amdhsa_private_segment_fixed_size 0
		.amdhsa_kernarg_size 288
		.amdhsa_user_sgpr_count 6
		.amdhsa_user_sgpr_private_segment_buffer 1
		.amdhsa_user_sgpr_dispatch_ptr 0
		.amdhsa_user_sgpr_queue_ptr 0
		.amdhsa_user_sgpr_kernarg_segment_ptr 1
		.amdhsa_user_sgpr_dispatch_id 0
		.amdhsa_user_sgpr_flat_scratch_init 0
		.amdhsa_user_sgpr_private_segment_size 0
		.amdhsa_uses_dynamic_stack 0
		.amdhsa_system_sgpr_private_segment_wavefront_offset 0
		.amdhsa_system_sgpr_workgroup_id_x 1
		.amdhsa_system_sgpr_workgroup_id_y 1
		.amdhsa_system_sgpr_workgroup_id_z 0
		.amdhsa_system_sgpr_workgroup_info 0
		.amdhsa_system_vgpr_workitem_id 0
		.amdhsa_next_free_vgpr 8
		.amdhsa_next_free_sgpr 28
		.amdhsa_reserve_vcc 1
		.amdhsa_reserve_flat_scratch 0
		.amdhsa_float_round_mode_32 0
		.amdhsa_float_round_mode_16_64 0
		.amdhsa_float_denorm_mode_32 3
		.amdhsa_float_denorm_mode_16_64 3
		.amdhsa_dx10_clamp 1
		.amdhsa_ieee_mode 1
		.amdhsa_fp16_overflow 0
		.amdhsa_exception_fp_ieee_invalid_op 0
		.amdhsa_exception_fp_denorm_src 0
		.amdhsa_exception_fp_ieee_div_zero 0
		.amdhsa_exception_fp_ieee_overflow 0
		.amdhsa_exception_fp_ieee_underflow 0
		.amdhsa_exception_fp_ieee_inexact 0
		.amdhsa_exception_int_div_zero 0
	.end_amdhsa_kernel
	.section	.text._ZN2at6native28tensor_kernel_scan_outer_dimIhjSt10multipliesIhEEEvPT_PKS4_jjjS4_T1_,"axG",@progbits,_ZN2at6native28tensor_kernel_scan_outer_dimIhjSt10multipliesIhEEEvPT_PKS4_jjjS4_T1_,comdat
.Lfunc_end7:
	.size	_ZN2at6native28tensor_kernel_scan_outer_dimIhjSt10multipliesIhEEEvPT_PKS4_jjjS4_T1_, .Lfunc_end7-_ZN2at6native28tensor_kernel_scan_outer_dimIhjSt10multipliesIhEEEvPT_PKS4_jjjS4_T1_
                                        ; -- End function
	.set _ZN2at6native28tensor_kernel_scan_outer_dimIhjSt10multipliesIhEEEvPT_PKS4_jjjS4_T1_.num_vgpr, 8
	.set _ZN2at6native28tensor_kernel_scan_outer_dimIhjSt10multipliesIhEEEvPT_PKS4_jjjS4_T1_.num_agpr, 0
	.set _ZN2at6native28tensor_kernel_scan_outer_dimIhjSt10multipliesIhEEEvPT_PKS4_jjjS4_T1_.numbered_sgpr, 28
	.set _ZN2at6native28tensor_kernel_scan_outer_dimIhjSt10multipliesIhEEEvPT_PKS4_jjjS4_T1_.num_named_barrier, 0
	.set _ZN2at6native28tensor_kernel_scan_outer_dimIhjSt10multipliesIhEEEvPT_PKS4_jjjS4_T1_.private_seg_size, 0
	.set _ZN2at6native28tensor_kernel_scan_outer_dimIhjSt10multipliesIhEEEvPT_PKS4_jjjS4_T1_.uses_vcc, 1
	.set _ZN2at6native28tensor_kernel_scan_outer_dimIhjSt10multipliesIhEEEvPT_PKS4_jjjS4_T1_.uses_flat_scratch, 0
	.set _ZN2at6native28tensor_kernel_scan_outer_dimIhjSt10multipliesIhEEEvPT_PKS4_jjjS4_T1_.has_dyn_sized_stack, 0
	.set _ZN2at6native28tensor_kernel_scan_outer_dimIhjSt10multipliesIhEEEvPT_PKS4_jjjS4_T1_.has_recursion, 0
	.set _ZN2at6native28tensor_kernel_scan_outer_dimIhjSt10multipliesIhEEEvPT_PKS4_jjjS4_T1_.has_indirect_call, 0
	.section	.AMDGPU.csdata,"",@progbits
; Kernel info:
; codeLenInByte = 316
; TotalNumSgprs: 32
; NumVgprs: 8
; ScratchSize: 0
; MemoryBound: 0
; FloatMode: 240
; IeeeMode: 1
; LDSByteSize: 0 bytes/workgroup (compile time only)
; SGPRBlocks: 3
; VGPRBlocks: 1
; NumSGPRsForWavesPerEU: 32
; NumVGPRsForWavesPerEU: 8
; Occupancy: 10
; WaveLimiterHint : 0
; COMPUTE_PGM_RSRC2:SCRATCH_EN: 0
; COMPUTE_PGM_RSRC2:USER_SGPR: 6
; COMPUTE_PGM_RSRC2:TRAP_HANDLER: 0
; COMPUTE_PGM_RSRC2:TGID_X_EN: 1
; COMPUTE_PGM_RSRC2:TGID_Y_EN: 1
; COMPUTE_PGM_RSRC2:TGID_Z_EN: 0
; COMPUTE_PGM_RSRC2:TIDIG_COMP_CNT: 0
	.section	.text._ZN2at6native28tensor_kernel_scan_outer_dimIhmSt10multipliesIhEEEvPT_PKS4_jjjS4_T1_,"axG",@progbits,_ZN2at6native28tensor_kernel_scan_outer_dimIhmSt10multipliesIhEEEvPT_PKS4_jjjS4_T1_,comdat
	.protected	_ZN2at6native28tensor_kernel_scan_outer_dimIhmSt10multipliesIhEEEvPT_PKS4_jjjS4_T1_ ; -- Begin function _ZN2at6native28tensor_kernel_scan_outer_dimIhmSt10multipliesIhEEEvPT_PKS4_jjjS4_T1_
	.globl	_ZN2at6native28tensor_kernel_scan_outer_dimIhmSt10multipliesIhEEEvPT_PKS4_jjjS4_T1_
	.p2align	8
	.type	_ZN2at6native28tensor_kernel_scan_outer_dimIhmSt10multipliesIhEEEvPT_PKS4_jjjS4_T1_,@function
_ZN2at6native28tensor_kernel_scan_outer_dimIhmSt10multipliesIhEEEvPT_PKS4_jjjS4_T1_: ; @_ZN2at6native28tensor_kernel_scan_outer_dimIhmSt10multipliesIhEEEvPT_PKS4_jjjS4_T1_
; %bb.0:
	s_load_dwordx4 s[8:11], s[4:5], 0x10
	s_waitcnt lgkmcnt(0)
	s_cmp_ge_u32 s6, s8
	s_cbranch_scc1 .LBB8_9
; %bb.1:
	s_load_dword s0, s[4:5], 0x2c
	s_load_dwordx4 s[12:15], s[4:5], 0x0
	s_load_dword s22, s[4:5], 0x20
	s_add_u32 s16, s4, 32
	s_addc_u32 s17, s5, 0
	s_waitcnt lgkmcnt(0)
	s_and_b32 s23, s0, 0xffff
	s_cmp_lg_u32 s10, 0
	s_mul_i32 s7, s7, s23
	s_cselect_b64 s[2:3], -1, 0
	v_add_u32_e32 v0, s7, v0
	v_cndmask_b32_e64 v1, 0, 1, s[2:3]
	v_cmp_gt_u32_e64 s[0:1], s9, v0
	s_mov_b32 s7, s9
	s_mul_hi_u32 s24, s10, s9
	s_mul_i32 s25, s10, s9
	v_cmp_ne_u32_e64 s[2:3], 1, v1
	s_branch .LBB8_3
.LBB8_2:                                ;   in Loop: Header=BB8_3 Depth=1
	s_or_b64 exec, exec, s[18:19]
	s_add_i32 s6, s6, s22
	s_cmp_ge_u32 s6, s8
	s_cbranch_scc1 .LBB8_9
.LBB8_3:                                ; =>This Loop Header: Depth=1
                                        ;     Child Loop BB8_6 Depth 2
                                        ;       Child Loop BB8_8 Depth 3
	s_and_saveexec_b64 s[18:19], s[0:1]
	s_cbranch_execz .LBB8_2
; %bb.4:                                ;   in Loop: Header=BB8_3 Depth=1
	s_load_dword s28, s[16:17], 0x4
	s_mul_i32 s4, s24, s6
	s_mul_hi_u32 s5, s25, s6
	s_mul_i32 s26, s25, s6
	s_add_i32 s27, s5, s4
	s_waitcnt lgkmcnt(0)
	s_mul_i32 s28, s28, s23
	s_mov_b64 s[20:21], 0
	v_mov_b32_e32 v1, v0
	s_branch .LBB8_6
.LBB8_5:                                ;   in Loop: Header=BB8_6 Depth=2
	v_add_u32_e32 v1, s28, v1
	v_cmp_le_u32_e32 vcc, s9, v1
	s_or_b64 s[20:21], vcc, s[20:21]
	s_andn2_b64 exec, exec, s[20:21]
	s_cbranch_execz .LBB8_2
.LBB8_6:                                ;   Parent Loop BB8_3 Depth=1
                                        ; =>  This Loop Header: Depth=2
                                        ;       Child Loop BB8_8 Depth 3
	s_and_b64 vcc, exec, s[2:3]
	s_cbranch_vccnz .LBB8_5
; %bb.7:                                ;   in Loop: Header=BB8_6 Depth=2
	v_mov_b32_e32 v3, s27
	v_add_co_u32_e32 v2, vcc, s26, v1
	v_addc_co_u32_e32 v3, vcc, 0, v3, vcc
	v_mov_b32_e32 v4, s11
	s_mov_b32 s29, s10
.LBB8_8:                                ;   Parent Loop BB8_3 Depth=1
                                        ;     Parent Loop BB8_6 Depth=2
                                        ; =>    This Inner Loop Header: Depth=3
	v_mov_b32_e32 v6, s15
	v_add_co_u32_e32 v5, vcc, s14, v2
	v_addc_co_u32_e32 v6, vcc, v6, v3, vcc
	global_load_ubyte v7, v[5:6], off
	v_mov_b32_e32 v6, s13
	v_add_co_u32_e32 v5, vcc, s12, v2
	s_add_i32 s29, s29, -1
	v_add_co_u32_e64 v2, s[4:5], s7, v2
	v_addc_co_u32_e32 v6, vcc, v6, v3, vcc
	v_addc_co_u32_e64 v3, vcc, 0, v3, s[4:5]
	s_cmp_eq_u32 s29, 0
	s_waitcnt vmcnt(0)
	v_mul_lo_u16_e32 v4, v7, v4
	global_store_byte v[5:6], v4, off
	s_cbranch_scc0 .LBB8_8
	s_branch .LBB8_5
.LBB8_9:
	s_endpgm
	.section	.rodata,"a",@progbits
	.p2align	6, 0x0
	.amdhsa_kernel _ZN2at6native28tensor_kernel_scan_outer_dimIhmSt10multipliesIhEEEvPT_PKS4_jjjS4_T1_
		.amdhsa_group_segment_fixed_size 0
		.amdhsa_private_segment_fixed_size 0
		.amdhsa_kernarg_size 288
		.amdhsa_user_sgpr_count 6
		.amdhsa_user_sgpr_private_segment_buffer 1
		.amdhsa_user_sgpr_dispatch_ptr 0
		.amdhsa_user_sgpr_queue_ptr 0
		.amdhsa_user_sgpr_kernarg_segment_ptr 1
		.amdhsa_user_sgpr_dispatch_id 0
		.amdhsa_user_sgpr_flat_scratch_init 0
		.amdhsa_user_sgpr_private_segment_size 0
		.amdhsa_uses_dynamic_stack 0
		.amdhsa_system_sgpr_private_segment_wavefront_offset 0
		.amdhsa_system_sgpr_workgroup_id_x 1
		.amdhsa_system_sgpr_workgroup_id_y 1
		.amdhsa_system_sgpr_workgroup_id_z 0
		.amdhsa_system_sgpr_workgroup_info 0
		.amdhsa_system_vgpr_workitem_id 0
		.amdhsa_next_free_vgpr 8
		.amdhsa_next_free_sgpr 30
		.amdhsa_reserve_vcc 1
		.amdhsa_reserve_flat_scratch 0
		.amdhsa_float_round_mode_32 0
		.amdhsa_float_round_mode_16_64 0
		.amdhsa_float_denorm_mode_32 3
		.amdhsa_float_denorm_mode_16_64 3
		.amdhsa_dx10_clamp 1
		.amdhsa_ieee_mode 1
		.amdhsa_fp16_overflow 0
		.amdhsa_exception_fp_ieee_invalid_op 0
		.amdhsa_exception_fp_denorm_src 0
		.amdhsa_exception_fp_ieee_div_zero 0
		.amdhsa_exception_fp_ieee_overflow 0
		.amdhsa_exception_fp_ieee_underflow 0
		.amdhsa_exception_fp_ieee_inexact 0
		.amdhsa_exception_int_div_zero 0
	.end_amdhsa_kernel
	.section	.text._ZN2at6native28tensor_kernel_scan_outer_dimIhmSt10multipliesIhEEEvPT_PKS4_jjjS4_T1_,"axG",@progbits,_ZN2at6native28tensor_kernel_scan_outer_dimIhmSt10multipliesIhEEEvPT_PKS4_jjjS4_T1_,comdat
.Lfunc_end8:
	.size	_ZN2at6native28tensor_kernel_scan_outer_dimIhmSt10multipliesIhEEEvPT_PKS4_jjjS4_T1_, .Lfunc_end8-_ZN2at6native28tensor_kernel_scan_outer_dimIhmSt10multipliesIhEEEvPT_PKS4_jjjS4_T1_
                                        ; -- End function
	.set _ZN2at6native28tensor_kernel_scan_outer_dimIhmSt10multipliesIhEEEvPT_PKS4_jjjS4_T1_.num_vgpr, 8
	.set _ZN2at6native28tensor_kernel_scan_outer_dimIhmSt10multipliesIhEEEvPT_PKS4_jjjS4_T1_.num_agpr, 0
	.set _ZN2at6native28tensor_kernel_scan_outer_dimIhmSt10multipliesIhEEEvPT_PKS4_jjjS4_T1_.numbered_sgpr, 30
	.set _ZN2at6native28tensor_kernel_scan_outer_dimIhmSt10multipliesIhEEEvPT_PKS4_jjjS4_T1_.num_named_barrier, 0
	.set _ZN2at6native28tensor_kernel_scan_outer_dimIhmSt10multipliesIhEEEvPT_PKS4_jjjS4_T1_.private_seg_size, 0
	.set _ZN2at6native28tensor_kernel_scan_outer_dimIhmSt10multipliesIhEEEvPT_PKS4_jjjS4_T1_.uses_vcc, 1
	.set _ZN2at6native28tensor_kernel_scan_outer_dimIhmSt10multipliesIhEEEvPT_PKS4_jjjS4_T1_.uses_flat_scratch, 0
	.set _ZN2at6native28tensor_kernel_scan_outer_dimIhmSt10multipliesIhEEEvPT_PKS4_jjjS4_T1_.has_dyn_sized_stack, 0
	.set _ZN2at6native28tensor_kernel_scan_outer_dimIhmSt10multipliesIhEEEvPT_PKS4_jjjS4_T1_.has_recursion, 0
	.set _ZN2at6native28tensor_kernel_scan_outer_dimIhmSt10multipliesIhEEEvPT_PKS4_jjjS4_T1_.has_indirect_call, 0
	.section	.AMDGPU.csdata,"",@progbits
; Kernel info:
; codeLenInByte = 320
; TotalNumSgprs: 34
; NumVgprs: 8
; ScratchSize: 0
; MemoryBound: 0
; FloatMode: 240
; IeeeMode: 1
; LDSByteSize: 0 bytes/workgroup (compile time only)
; SGPRBlocks: 4
; VGPRBlocks: 1
; NumSGPRsForWavesPerEU: 34
; NumVGPRsForWavesPerEU: 8
; Occupancy: 10
; WaveLimiterHint : 0
; COMPUTE_PGM_RSRC2:SCRATCH_EN: 0
; COMPUTE_PGM_RSRC2:USER_SGPR: 6
; COMPUTE_PGM_RSRC2:TRAP_HANDLER: 0
; COMPUTE_PGM_RSRC2:TGID_X_EN: 1
; COMPUTE_PGM_RSRC2:TGID_Y_EN: 1
; COMPUTE_PGM_RSRC2:TGID_Z_EN: 0
; COMPUTE_PGM_RSRC2:TIDIG_COMP_CNT: 0
	.section	.text._ZN7rocprim17ROCPRIM_304000_NS6detail31init_lookback_scan_state_kernelINS1_19lookback_scan_stateIaLb1ELb1EEEEEvT_jjPNS5_10value_typeE,"axG",@progbits,_ZN7rocprim17ROCPRIM_304000_NS6detail31init_lookback_scan_state_kernelINS1_19lookback_scan_stateIaLb1ELb1EEEEEvT_jjPNS5_10value_typeE,comdat
	.protected	_ZN7rocprim17ROCPRIM_304000_NS6detail31init_lookback_scan_state_kernelINS1_19lookback_scan_stateIaLb1ELb1EEEEEvT_jjPNS5_10value_typeE ; -- Begin function _ZN7rocprim17ROCPRIM_304000_NS6detail31init_lookback_scan_state_kernelINS1_19lookback_scan_stateIaLb1ELb1EEEEEvT_jjPNS5_10value_typeE
	.globl	_ZN7rocprim17ROCPRIM_304000_NS6detail31init_lookback_scan_state_kernelINS1_19lookback_scan_stateIaLb1ELb1EEEEEvT_jjPNS5_10value_typeE
	.p2align	8
	.type	_ZN7rocprim17ROCPRIM_304000_NS6detail31init_lookback_scan_state_kernelINS1_19lookback_scan_stateIaLb1ELb1EEEEEvT_jjPNS5_10value_typeE,@function
_ZN7rocprim17ROCPRIM_304000_NS6detail31init_lookback_scan_state_kernelINS1_19lookback_scan_stateIaLb1ELb1EEEEEvT_jjPNS5_10value_typeE: ; @_ZN7rocprim17ROCPRIM_304000_NS6detail31init_lookback_scan_state_kernelINS1_19lookback_scan_stateIaLb1ELb1EEEEEvT_jjPNS5_10value_typeE
; %bb.0:
	s_load_dword s7, s[4:5], 0x24
	s_load_dwordx2 s[8:9], s[4:5], 0x10
	s_load_dwordx4 s[0:3], s[4:5], 0x0
	s_waitcnt lgkmcnt(0)
	s_and_b32 s4, s7, 0xffff
	s_mul_i32 s6, s6, s4
	s_cmp_eq_u64 s[8:9], 0
	v_add_u32_e32 v0, s6, v0
	s_cbranch_scc1 .LBB9_8
; %bb.1:
	s_cmp_lt_u32 s3, s2
	s_cselect_b32 s4, s3, 0
	s_mov_b32 s7, 0
	v_cmp_eq_u32_e32 vcc, s4, v0
	s_and_saveexec_b64 s[4:5], vcc
	s_cbranch_execz .LBB9_7
; %bb.2:
	s_add_i32 s6, s3, 64
	s_lshl_b64 s[6:7], s[6:7], 1
	s_add_u32 s6, s0, s6
	s_addc_u32 s7, s1, s7
	v_mov_b32_e32 v1, 0
	global_load_ushort v2, v1, s[6:7] glc
	s_movk_i32 s3, 0xff
	s_waitcnt vmcnt(0)
	v_cmp_gt_u32_sdwa s[10:11], v2, s3 src0_sel:WORD_0 src1_sel:DWORD
	s_and_b64 vcc, exec, s[10:11]
	s_mov_b32 s10, 1
	s_cbranch_vccnz .LBB9_6
.LBB9_3:                                ; =>This Loop Header: Depth=1
                                        ;     Child Loop BB9_4 Depth 2
	s_mov_b32 s11, s10
.LBB9_4:                                ;   Parent Loop BB9_3 Depth=1
                                        ; =>  This Inner Loop Header: Depth=2
	s_add_i32 s11, s11, -1
	s_cmp_eq_u32 s11, 0
	s_sleep 1
	s_cbranch_scc0 .LBB9_4
; %bb.5:                                ;   in Loop: Header=BB9_3 Depth=1
	global_load_ushort v2, v1, s[6:7] glc
	s_cmp_lt_u32 s10, 32
	s_cselect_b64 s[12:13], -1, 0
	s_cmp_lg_u64 s[12:13], 0
	s_addc_u32 s10, s10, 0
	s_waitcnt vmcnt(0)
	v_cmp_gt_u32_sdwa s[12:13], v2, s3 src0_sel:WORD_0 src1_sel:DWORD
	s_and_b64 vcc, exec, s[12:13]
	s_cbranch_vccz .LBB9_3
.LBB9_6:
	v_mov_b32_e32 v1, 0
	global_store_byte v1, v2, s[8:9]
.LBB9_7:
	s_or_b64 exec, exec, s[4:5]
.LBB9_8:
	v_cmp_gt_u32_e32 vcc, s2, v0
	s_and_saveexec_b64 s[2:3], vcc
	s_cbranch_execnz .LBB9_11
; %bb.9:
	s_or_b64 exec, exec, s[2:3]
	v_cmp_gt_u32_e32 vcc, 64, v0
	s_and_saveexec_b64 s[2:3], vcc
	s_cbranch_execnz .LBB9_12
.LBB9_10:
	s_endpgm
.LBB9_11:
	v_add_u32_e32 v1, 64, v0
	v_mov_b32_e32 v2, 0
	v_lshlrev_b64 v[3:4], 1, v[1:2]
	v_mov_b32_e32 v1, s1
	v_add_co_u32_e32 v3, vcc, s0, v3
	v_addc_co_u32_e32 v4, vcc, v1, v4, vcc
	global_store_short v[3:4], v2, off
	s_or_b64 exec, exec, s[2:3]
	v_cmp_gt_u32_e32 vcc, 64, v0
	s_and_saveexec_b64 s[2:3], vcc
	s_cbranch_execz .LBB9_10
.LBB9_12:
	v_mov_b32_e32 v1, 0
	v_lshlrev_b64 v[0:1], 1, v[0:1]
	v_mov_b32_e32 v2, s1
	v_add_co_u32_e32 v0, vcc, s0, v0
	v_addc_co_u32_e32 v1, vcc, v2, v1, vcc
	v_mov_b32_e32 v2, 0xffffff00
	global_store_short v[0:1], v2, off
	s_endpgm
	.section	.rodata,"a",@progbits
	.p2align	6, 0x0
	.amdhsa_kernel _ZN7rocprim17ROCPRIM_304000_NS6detail31init_lookback_scan_state_kernelINS1_19lookback_scan_stateIaLb1ELb1EEEEEvT_jjPNS5_10value_typeE
		.amdhsa_group_segment_fixed_size 0
		.amdhsa_private_segment_fixed_size 0
		.amdhsa_kernarg_size 280
		.amdhsa_user_sgpr_count 6
		.amdhsa_user_sgpr_private_segment_buffer 1
		.amdhsa_user_sgpr_dispatch_ptr 0
		.amdhsa_user_sgpr_queue_ptr 0
		.amdhsa_user_sgpr_kernarg_segment_ptr 1
		.amdhsa_user_sgpr_dispatch_id 0
		.amdhsa_user_sgpr_flat_scratch_init 0
		.amdhsa_user_sgpr_private_segment_size 0
		.amdhsa_uses_dynamic_stack 0
		.amdhsa_system_sgpr_private_segment_wavefront_offset 0
		.amdhsa_system_sgpr_workgroup_id_x 1
		.amdhsa_system_sgpr_workgroup_id_y 0
		.amdhsa_system_sgpr_workgroup_id_z 0
		.amdhsa_system_sgpr_workgroup_info 0
		.amdhsa_system_vgpr_workitem_id 0
		.amdhsa_next_free_vgpr 5
		.amdhsa_next_free_sgpr 14
		.amdhsa_reserve_vcc 1
		.amdhsa_reserve_flat_scratch 0
		.amdhsa_float_round_mode_32 0
		.amdhsa_float_round_mode_16_64 0
		.amdhsa_float_denorm_mode_32 3
		.amdhsa_float_denorm_mode_16_64 3
		.amdhsa_dx10_clamp 1
		.amdhsa_ieee_mode 1
		.amdhsa_fp16_overflow 0
		.amdhsa_exception_fp_ieee_invalid_op 0
		.amdhsa_exception_fp_denorm_src 0
		.amdhsa_exception_fp_ieee_div_zero 0
		.amdhsa_exception_fp_ieee_overflow 0
		.amdhsa_exception_fp_ieee_underflow 0
		.amdhsa_exception_fp_ieee_inexact 0
		.amdhsa_exception_int_div_zero 0
	.end_amdhsa_kernel
	.section	.text._ZN7rocprim17ROCPRIM_304000_NS6detail31init_lookback_scan_state_kernelINS1_19lookback_scan_stateIaLb1ELb1EEEEEvT_jjPNS5_10value_typeE,"axG",@progbits,_ZN7rocprim17ROCPRIM_304000_NS6detail31init_lookback_scan_state_kernelINS1_19lookback_scan_stateIaLb1ELb1EEEEEvT_jjPNS5_10value_typeE,comdat
.Lfunc_end9:
	.size	_ZN7rocprim17ROCPRIM_304000_NS6detail31init_lookback_scan_state_kernelINS1_19lookback_scan_stateIaLb1ELb1EEEEEvT_jjPNS5_10value_typeE, .Lfunc_end9-_ZN7rocprim17ROCPRIM_304000_NS6detail31init_lookback_scan_state_kernelINS1_19lookback_scan_stateIaLb1ELb1EEEEEvT_jjPNS5_10value_typeE
                                        ; -- End function
	.set _ZN7rocprim17ROCPRIM_304000_NS6detail31init_lookback_scan_state_kernelINS1_19lookback_scan_stateIaLb1ELb1EEEEEvT_jjPNS5_10value_typeE.num_vgpr, 5
	.set _ZN7rocprim17ROCPRIM_304000_NS6detail31init_lookback_scan_state_kernelINS1_19lookback_scan_stateIaLb1ELb1EEEEEvT_jjPNS5_10value_typeE.num_agpr, 0
	.set _ZN7rocprim17ROCPRIM_304000_NS6detail31init_lookback_scan_state_kernelINS1_19lookback_scan_stateIaLb1ELb1EEEEEvT_jjPNS5_10value_typeE.numbered_sgpr, 14
	.set _ZN7rocprim17ROCPRIM_304000_NS6detail31init_lookback_scan_state_kernelINS1_19lookback_scan_stateIaLb1ELb1EEEEEvT_jjPNS5_10value_typeE.num_named_barrier, 0
	.set _ZN7rocprim17ROCPRIM_304000_NS6detail31init_lookback_scan_state_kernelINS1_19lookback_scan_stateIaLb1ELb1EEEEEvT_jjPNS5_10value_typeE.private_seg_size, 0
	.set _ZN7rocprim17ROCPRIM_304000_NS6detail31init_lookback_scan_state_kernelINS1_19lookback_scan_stateIaLb1ELb1EEEEEvT_jjPNS5_10value_typeE.uses_vcc, 1
	.set _ZN7rocprim17ROCPRIM_304000_NS6detail31init_lookback_scan_state_kernelINS1_19lookback_scan_stateIaLb1ELb1EEEEEvT_jjPNS5_10value_typeE.uses_flat_scratch, 0
	.set _ZN7rocprim17ROCPRIM_304000_NS6detail31init_lookback_scan_state_kernelINS1_19lookback_scan_stateIaLb1ELb1EEEEEvT_jjPNS5_10value_typeE.has_dyn_sized_stack, 0
	.set _ZN7rocprim17ROCPRIM_304000_NS6detail31init_lookback_scan_state_kernelINS1_19lookback_scan_stateIaLb1ELb1EEEEEvT_jjPNS5_10value_typeE.has_recursion, 0
	.set _ZN7rocprim17ROCPRIM_304000_NS6detail31init_lookback_scan_state_kernelINS1_19lookback_scan_stateIaLb1ELb1EEEEEvT_jjPNS5_10value_typeE.has_indirect_call, 0
	.section	.AMDGPU.csdata,"",@progbits
; Kernel info:
; codeLenInByte = 340
; TotalNumSgprs: 18
; NumVgprs: 5
; ScratchSize: 0
; MemoryBound: 0
; FloatMode: 240
; IeeeMode: 1
; LDSByteSize: 0 bytes/workgroup (compile time only)
; SGPRBlocks: 2
; VGPRBlocks: 1
; NumSGPRsForWavesPerEU: 18
; NumVGPRsForWavesPerEU: 5
; Occupancy: 10
; WaveLimiterHint : 0
; COMPUTE_PGM_RSRC2:SCRATCH_EN: 0
; COMPUTE_PGM_RSRC2:USER_SGPR: 6
; COMPUTE_PGM_RSRC2:TRAP_HANDLER: 0
; COMPUTE_PGM_RSRC2:TGID_X_EN: 1
; COMPUTE_PGM_RSRC2:TGID_Y_EN: 0
; COMPUTE_PGM_RSRC2:TGID_Z_EN: 0
; COMPUTE_PGM_RSRC2:TIDIG_COMP_CNT: 0
	.section	.text._ZN7rocprim17ROCPRIM_304000_NS6detail31init_lookback_scan_state_kernelINS1_19lookback_scan_stateIaLb0ELb1EEEEEvT_jjPNS5_10value_typeE,"axG",@progbits,_ZN7rocprim17ROCPRIM_304000_NS6detail31init_lookback_scan_state_kernelINS1_19lookback_scan_stateIaLb0ELb1EEEEEvT_jjPNS5_10value_typeE,comdat
	.protected	_ZN7rocprim17ROCPRIM_304000_NS6detail31init_lookback_scan_state_kernelINS1_19lookback_scan_stateIaLb0ELb1EEEEEvT_jjPNS5_10value_typeE ; -- Begin function _ZN7rocprim17ROCPRIM_304000_NS6detail31init_lookback_scan_state_kernelINS1_19lookback_scan_stateIaLb0ELb1EEEEEvT_jjPNS5_10value_typeE
	.globl	_ZN7rocprim17ROCPRIM_304000_NS6detail31init_lookback_scan_state_kernelINS1_19lookback_scan_stateIaLb0ELb1EEEEEvT_jjPNS5_10value_typeE
	.p2align	8
	.type	_ZN7rocprim17ROCPRIM_304000_NS6detail31init_lookback_scan_state_kernelINS1_19lookback_scan_stateIaLb0ELb1EEEEEvT_jjPNS5_10value_typeE,@function
_ZN7rocprim17ROCPRIM_304000_NS6detail31init_lookback_scan_state_kernelINS1_19lookback_scan_stateIaLb0ELb1EEEEEvT_jjPNS5_10value_typeE: ; @_ZN7rocprim17ROCPRIM_304000_NS6detail31init_lookback_scan_state_kernelINS1_19lookback_scan_stateIaLb0ELb1EEEEEvT_jjPNS5_10value_typeE
; %bb.0:
	s_load_dword s7, s[4:5], 0x24
	s_load_dwordx2 s[8:9], s[4:5], 0x10
	s_load_dwordx4 s[0:3], s[4:5], 0x0
	s_waitcnt lgkmcnt(0)
	s_and_b32 s4, s7, 0xffff
	s_mul_i32 s6, s6, s4
	s_cmp_eq_u64 s[8:9], 0
	v_add_u32_e32 v0, s6, v0
	s_cbranch_scc1 .LBB10_7
; %bb.1:
	s_cmp_lt_u32 s3, s2
	s_cselect_b32 s4, s3, 0
	s_mov_b32 s7, 0
	v_cmp_eq_u32_e32 vcc, s4, v0
	s_and_saveexec_b64 s[4:5], vcc
	s_cbranch_execz .LBB10_6
; %bb.2:
	s_add_i32 s6, s3, 64
	s_lshl_b64 s[6:7], s[6:7], 1
	s_add_u32 s6, s0, s6
	s_addc_u32 s7, s1, s7
	v_mov_b32_e32 v2, 0
	global_load_ushort v1, v2, s[6:7] glc
	s_movk_i32 s3, 0xff
	s_waitcnt vmcnt(0)
	v_cmp_gt_u32_sdwa s[10:11], v1, s3 src0_sel:WORD_0 src1_sel:DWORD
	s_and_b64 vcc, exec, s[10:11]
	s_cbranch_vccnz .LBB10_5
; %bb.3:
	s_movk_i32 s3, 0x100
.LBB10_4:                               ; =>This Inner Loop Header: Depth=1
	global_load_ushort v1, v2, s[6:7] glc
	s_waitcnt vmcnt(0)
	v_cmp_lt_u32_sdwa s[10:11], v1, s3 src0_sel:WORD_0 src1_sel:DWORD
	s_and_b64 vcc, exec, s[10:11]
	s_cbranch_vccnz .LBB10_4
.LBB10_5:
	v_mov_b32_e32 v2, 0
	global_store_byte v2, v1, s[8:9]
.LBB10_6:
	s_or_b64 exec, exec, s[4:5]
.LBB10_7:
	v_cmp_gt_u32_e32 vcc, s2, v0
	s_and_saveexec_b64 s[2:3], vcc
	s_cbranch_execnz .LBB10_10
; %bb.8:
	s_or_b64 exec, exec, s[2:3]
	v_cmp_gt_u32_e32 vcc, 64, v0
	s_and_saveexec_b64 s[2:3], vcc
	s_cbranch_execnz .LBB10_11
.LBB10_9:
	s_endpgm
.LBB10_10:
	v_add_u32_e32 v1, 64, v0
	v_mov_b32_e32 v2, 0
	v_lshlrev_b64 v[3:4], 1, v[1:2]
	v_mov_b32_e32 v1, s1
	v_add_co_u32_e32 v3, vcc, s0, v3
	v_addc_co_u32_e32 v4, vcc, v1, v4, vcc
	global_store_short v[3:4], v2, off
	s_or_b64 exec, exec, s[2:3]
	v_cmp_gt_u32_e32 vcc, 64, v0
	s_and_saveexec_b64 s[2:3], vcc
	s_cbranch_execz .LBB10_9
.LBB10_11:
	v_mov_b32_e32 v1, 0
	v_lshlrev_b64 v[0:1], 1, v[0:1]
	v_mov_b32_e32 v2, s1
	v_add_co_u32_e32 v0, vcc, s0, v0
	v_addc_co_u32_e32 v1, vcc, v2, v1, vcc
	v_mov_b32_e32 v2, 0xffffff00
	global_store_short v[0:1], v2, off
	s_endpgm
	.section	.rodata,"a",@progbits
	.p2align	6, 0x0
	.amdhsa_kernel _ZN7rocprim17ROCPRIM_304000_NS6detail31init_lookback_scan_state_kernelINS1_19lookback_scan_stateIaLb0ELb1EEEEEvT_jjPNS5_10value_typeE
		.amdhsa_group_segment_fixed_size 0
		.amdhsa_private_segment_fixed_size 0
		.amdhsa_kernarg_size 280
		.amdhsa_user_sgpr_count 6
		.amdhsa_user_sgpr_private_segment_buffer 1
		.amdhsa_user_sgpr_dispatch_ptr 0
		.amdhsa_user_sgpr_queue_ptr 0
		.amdhsa_user_sgpr_kernarg_segment_ptr 1
		.amdhsa_user_sgpr_dispatch_id 0
		.amdhsa_user_sgpr_flat_scratch_init 0
		.amdhsa_user_sgpr_private_segment_size 0
		.amdhsa_uses_dynamic_stack 0
		.amdhsa_system_sgpr_private_segment_wavefront_offset 0
		.amdhsa_system_sgpr_workgroup_id_x 1
		.amdhsa_system_sgpr_workgroup_id_y 0
		.amdhsa_system_sgpr_workgroup_id_z 0
		.amdhsa_system_sgpr_workgroup_info 0
		.amdhsa_system_vgpr_workitem_id 0
		.amdhsa_next_free_vgpr 5
		.amdhsa_next_free_sgpr 12
		.amdhsa_reserve_vcc 1
		.amdhsa_reserve_flat_scratch 0
		.amdhsa_float_round_mode_32 0
		.amdhsa_float_round_mode_16_64 0
		.amdhsa_float_denorm_mode_32 3
		.amdhsa_float_denorm_mode_16_64 3
		.amdhsa_dx10_clamp 1
		.amdhsa_ieee_mode 1
		.amdhsa_fp16_overflow 0
		.amdhsa_exception_fp_ieee_invalid_op 0
		.amdhsa_exception_fp_denorm_src 0
		.amdhsa_exception_fp_ieee_div_zero 0
		.amdhsa_exception_fp_ieee_overflow 0
		.amdhsa_exception_fp_ieee_underflow 0
		.amdhsa_exception_fp_ieee_inexact 0
		.amdhsa_exception_int_div_zero 0
	.end_amdhsa_kernel
	.section	.text._ZN7rocprim17ROCPRIM_304000_NS6detail31init_lookback_scan_state_kernelINS1_19lookback_scan_stateIaLb0ELb1EEEEEvT_jjPNS5_10value_typeE,"axG",@progbits,_ZN7rocprim17ROCPRIM_304000_NS6detail31init_lookback_scan_state_kernelINS1_19lookback_scan_stateIaLb0ELb1EEEEEvT_jjPNS5_10value_typeE,comdat
.Lfunc_end10:
	.size	_ZN7rocprim17ROCPRIM_304000_NS6detail31init_lookback_scan_state_kernelINS1_19lookback_scan_stateIaLb0ELb1EEEEEvT_jjPNS5_10value_typeE, .Lfunc_end10-_ZN7rocprim17ROCPRIM_304000_NS6detail31init_lookback_scan_state_kernelINS1_19lookback_scan_stateIaLb0ELb1EEEEEvT_jjPNS5_10value_typeE
                                        ; -- End function
	.set _ZN7rocprim17ROCPRIM_304000_NS6detail31init_lookback_scan_state_kernelINS1_19lookback_scan_stateIaLb0ELb1EEEEEvT_jjPNS5_10value_typeE.num_vgpr, 5
	.set _ZN7rocprim17ROCPRIM_304000_NS6detail31init_lookback_scan_state_kernelINS1_19lookback_scan_stateIaLb0ELb1EEEEEvT_jjPNS5_10value_typeE.num_agpr, 0
	.set _ZN7rocprim17ROCPRIM_304000_NS6detail31init_lookback_scan_state_kernelINS1_19lookback_scan_stateIaLb0ELb1EEEEEvT_jjPNS5_10value_typeE.numbered_sgpr, 12
	.set _ZN7rocprim17ROCPRIM_304000_NS6detail31init_lookback_scan_state_kernelINS1_19lookback_scan_stateIaLb0ELb1EEEEEvT_jjPNS5_10value_typeE.num_named_barrier, 0
	.set _ZN7rocprim17ROCPRIM_304000_NS6detail31init_lookback_scan_state_kernelINS1_19lookback_scan_stateIaLb0ELb1EEEEEvT_jjPNS5_10value_typeE.private_seg_size, 0
	.set _ZN7rocprim17ROCPRIM_304000_NS6detail31init_lookback_scan_state_kernelINS1_19lookback_scan_stateIaLb0ELb1EEEEEvT_jjPNS5_10value_typeE.uses_vcc, 1
	.set _ZN7rocprim17ROCPRIM_304000_NS6detail31init_lookback_scan_state_kernelINS1_19lookback_scan_stateIaLb0ELb1EEEEEvT_jjPNS5_10value_typeE.uses_flat_scratch, 0
	.set _ZN7rocprim17ROCPRIM_304000_NS6detail31init_lookback_scan_state_kernelINS1_19lookback_scan_stateIaLb0ELb1EEEEEvT_jjPNS5_10value_typeE.has_dyn_sized_stack, 0
	.set _ZN7rocprim17ROCPRIM_304000_NS6detail31init_lookback_scan_state_kernelINS1_19lookback_scan_stateIaLb0ELb1EEEEEvT_jjPNS5_10value_typeE.has_recursion, 0
	.set _ZN7rocprim17ROCPRIM_304000_NS6detail31init_lookback_scan_state_kernelINS1_19lookback_scan_stateIaLb0ELb1EEEEEvT_jjPNS5_10value_typeE.has_indirect_call, 0
	.section	.AMDGPU.csdata,"",@progbits
; Kernel info:
; codeLenInByte = 304
; TotalNumSgprs: 16
; NumVgprs: 5
; ScratchSize: 0
; MemoryBound: 0
; FloatMode: 240
; IeeeMode: 1
; LDSByteSize: 0 bytes/workgroup (compile time only)
; SGPRBlocks: 1
; VGPRBlocks: 1
; NumSGPRsForWavesPerEU: 16
; NumVGPRsForWavesPerEU: 5
; Occupancy: 10
; WaveLimiterHint : 0
; COMPUTE_PGM_RSRC2:SCRATCH_EN: 0
; COMPUTE_PGM_RSRC2:USER_SGPR: 6
; COMPUTE_PGM_RSRC2:TRAP_HANDLER: 0
; COMPUTE_PGM_RSRC2:TGID_X_EN: 1
; COMPUTE_PGM_RSRC2:TGID_Y_EN: 0
; COMPUTE_PGM_RSRC2:TGID_Z_EN: 0
; COMPUTE_PGM_RSRC2:TIDIG_COMP_CNT: 0
	.section	.text._ZN7rocprim17ROCPRIM_304000_NS6detail20lookback_scan_kernelILNS1_25lookback_scan_determinismE0ELb0ENS1_19wrapped_scan_configINS0_14default_configEaEEPKaPaSt10multipliesIaEaaNS1_19lookback_scan_stateIaLb1ELb1EEEEEvT2_T3_mT5_T4_T7_jPT6_SK_bb,"axG",@progbits,_ZN7rocprim17ROCPRIM_304000_NS6detail20lookback_scan_kernelILNS1_25lookback_scan_determinismE0ELb0ENS1_19wrapped_scan_configINS0_14default_configEaEEPKaPaSt10multipliesIaEaaNS1_19lookback_scan_stateIaLb1ELb1EEEEEvT2_T3_mT5_T4_T7_jPT6_SK_bb,comdat
	.protected	_ZN7rocprim17ROCPRIM_304000_NS6detail20lookback_scan_kernelILNS1_25lookback_scan_determinismE0ELb0ENS1_19wrapped_scan_configINS0_14default_configEaEEPKaPaSt10multipliesIaEaaNS1_19lookback_scan_stateIaLb1ELb1EEEEEvT2_T3_mT5_T4_T7_jPT6_SK_bb ; -- Begin function _ZN7rocprim17ROCPRIM_304000_NS6detail20lookback_scan_kernelILNS1_25lookback_scan_determinismE0ELb0ENS1_19wrapped_scan_configINS0_14default_configEaEEPKaPaSt10multipliesIaEaaNS1_19lookback_scan_stateIaLb1ELb1EEEEEvT2_T3_mT5_T4_T7_jPT6_SK_bb
	.globl	_ZN7rocprim17ROCPRIM_304000_NS6detail20lookback_scan_kernelILNS1_25lookback_scan_determinismE0ELb0ENS1_19wrapped_scan_configINS0_14default_configEaEEPKaPaSt10multipliesIaEaaNS1_19lookback_scan_stateIaLb1ELb1EEEEEvT2_T3_mT5_T4_T7_jPT6_SK_bb
	.p2align	8
	.type	_ZN7rocprim17ROCPRIM_304000_NS6detail20lookback_scan_kernelILNS1_25lookback_scan_determinismE0ELb0ENS1_19wrapped_scan_configINS0_14default_configEaEEPKaPaSt10multipliesIaEaaNS1_19lookback_scan_stateIaLb1ELb1EEEEEvT2_T3_mT5_T4_T7_jPT6_SK_bb,@function
_ZN7rocprim17ROCPRIM_304000_NS6detail20lookback_scan_kernelILNS1_25lookback_scan_determinismE0ELb0ENS1_19wrapped_scan_configINS0_14default_configEaEEPKaPaSt10multipliesIaEaaNS1_19lookback_scan_stateIaLb1ELb1EEEEEvT2_T3_mT5_T4_T7_jPT6_SK_bb: ; @_ZN7rocprim17ROCPRIM_304000_NS6detail20lookback_scan_kernelILNS1_25lookback_scan_determinismE0ELb0ENS1_19wrapped_scan_configINS0_14default_configEaEEPKaPaSt10multipliesIaEaaNS1_19lookback_scan_stateIaLb1ELb1EEEEEvT2_T3_mT5_T4_T7_jPT6_SK_bb
; %bb.0:
	s_endpgm
	.section	.rodata,"a",@progbits
	.p2align	6, 0x0
	.amdhsa_kernel _ZN7rocprim17ROCPRIM_304000_NS6detail20lookback_scan_kernelILNS1_25lookback_scan_determinismE0ELb0ENS1_19wrapped_scan_configINS0_14default_configEaEEPKaPaSt10multipliesIaEaaNS1_19lookback_scan_stateIaLb1ELb1EEEEEvT2_T3_mT5_T4_T7_jPT6_SK_bb
		.amdhsa_group_segment_fixed_size 0
		.amdhsa_private_segment_fixed_size 0
		.amdhsa_kernarg_size 68
		.amdhsa_user_sgpr_count 6
		.amdhsa_user_sgpr_private_segment_buffer 1
		.amdhsa_user_sgpr_dispatch_ptr 0
		.amdhsa_user_sgpr_queue_ptr 0
		.amdhsa_user_sgpr_kernarg_segment_ptr 1
		.amdhsa_user_sgpr_dispatch_id 0
		.amdhsa_user_sgpr_flat_scratch_init 0
		.amdhsa_user_sgpr_private_segment_size 0
		.amdhsa_uses_dynamic_stack 0
		.amdhsa_system_sgpr_private_segment_wavefront_offset 0
		.amdhsa_system_sgpr_workgroup_id_x 1
		.amdhsa_system_sgpr_workgroup_id_y 0
		.amdhsa_system_sgpr_workgroup_id_z 0
		.amdhsa_system_sgpr_workgroup_info 0
		.amdhsa_system_vgpr_workitem_id 0
		.amdhsa_next_free_vgpr 1
		.amdhsa_next_free_sgpr 0
		.amdhsa_reserve_vcc 0
		.amdhsa_reserve_flat_scratch 0
		.amdhsa_float_round_mode_32 0
		.amdhsa_float_round_mode_16_64 0
		.amdhsa_float_denorm_mode_32 3
		.amdhsa_float_denorm_mode_16_64 3
		.amdhsa_dx10_clamp 1
		.amdhsa_ieee_mode 1
		.amdhsa_fp16_overflow 0
		.amdhsa_exception_fp_ieee_invalid_op 0
		.amdhsa_exception_fp_denorm_src 0
		.amdhsa_exception_fp_ieee_div_zero 0
		.amdhsa_exception_fp_ieee_overflow 0
		.amdhsa_exception_fp_ieee_underflow 0
		.amdhsa_exception_fp_ieee_inexact 0
		.amdhsa_exception_int_div_zero 0
	.end_amdhsa_kernel
	.section	.text._ZN7rocprim17ROCPRIM_304000_NS6detail20lookback_scan_kernelILNS1_25lookback_scan_determinismE0ELb0ENS1_19wrapped_scan_configINS0_14default_configEaEEPKaPaSt10multipliesIaEaaNS1_19lookback_scan_stateIaLb1ELb1EEEEEvT2_T3_mT5_T4_T7_jPT6_SK_bb,"axG",@progbits,_ZN7rocprim17ROCPRIM_304000_NS6detail20lookback_scan_kernelILNS1_25lookback_scan_determinismE0ELb0ENS1_19wrapped_scan_configINS0_14default_configEaEEPKaPaSt10multipliesIaEaaNS1_19lookback_scan_stateIaLb1ELb1EEEEEvT2_T3_mT5_T4_T7_jPT6_SK_bb,comdat
.Lfunc_end11:
	.size	_ZN7rocprim17ROCPRIM_304000_NS6detail20lookback_scan_kernelILNS1_25lookback_scan_determinismE0ELb0ENS1_19wrapped_scan_configINS0_14default_configEaEEPKaPaSt10multipliesIaEaaNS1_19lookback_scan_stateIaLb1ELb1EEEEEvT2_T3_mT5_T4_T7_jPT6_SK_bb, .Lfunc_end11-_ZN7rocprim17ROCPRIM_304000_NS6detail20lookback_scan_kernelILNS1_25lookback_scan_determinismE0ELb0ENS1_19wrapped_scan_configINS0_14default_configEaEEPKaPaSt10multipliesIaEaaNS1_19lookback_scan_stateIaLb1ELb1EEEEEvT2_T3_mT5_T4_T7_jPT6_SK_bb
                                        ; -- End function
	.set _ZN7rocprim17ROCPRIM_304000_NS6detail20lookback_scan_kernelILNS1_25lookback_scan_determinismE0ELb0ENS1_19wrapped_scan_configINS0_14default_configEaEEPKaPaSt10multipliesIaEaaNS1_19lookback_scan_stateIaLb1ELb1EEEEEvT2_T3_mT5_T4_T7_jPT6_SK_bb.num_vgpr, 0
	.set _ZN7rocprim17ROCPRIM_304000_NS6detail20lookback_scan_kernelILNS1_25lookback_scan_determinismE0ELb0ENS1_19wrapped_scan_configINS0_14default_configEaEEPKaPaSt10multipliesIaEaaNS1_19lookback_scan_stateIaLb1ELb1EEEEEvT2_T3_mT5_T4_T7_jPT6_SK_bb.num_agpr, 0
	.set _ZN7rocprim17ROCPRIM_304000_NS6detail20lookback_scan_kernelILNS1_25lookback_scan_determinismE0ELb0ENS1_19wrapped_scan_configINS0_14default_configEaEEPKaPaSt10multipliesIaEaaNS1_19lookback_scan_stateIaLb1ELb1EEEEEvT2_T3_mT5_T4_T7_jPT6_SK_bb.numbered_sgpr, 0
	.set _ZN7rocprim17ROCPRIM_304000_NS6detail20lookback_scan_kernelILNS1_25lookback_scan_determinismE0ELb0ENS1_19wrapped_scan_configINS0_14default_configEaEEPKaPaSt10multipliesIaEaaNS1_19lookback_scan_stateIaLb1ELb1EEEEEvT2_T3_mT5_T4_T7_jPT6_SK_bb.num_named_barrier, 0
	.set _ZN7rocprim17ROCPRIM_304000_NS6detail20lookback_scan_kernelILNS1_25lookback_scan_determinismE0ELb0ENS1_19wrapped_scan_configINS0_14default_configEaEEPKaPaSt10multipliesIaEaaNS1_19lookback_scan_stateIaLb1ELb1EEEEEvT2_T3_mT5_T4_T7_jPT6_SK_bb.private_seg_size, 0
	.set _ZN7rocprim17ROCPRIM_304000_NS6detail20lookback_scan_kernelILNS1_25lookback_scan_determinismE0ELb0ENS1_19wrapped_scan_configINS0_14default_configEaEEPKaPaSt10multipliesIaEaaNS1_19lookback_scan_stateIaLb1ELb1EEEEEvT2_T3_mT5_T4_T7_jPT6_SK_bb.uses_vcc, 0
	.set _ZN7rocprim17ROCPRIM_304000_NS6detail20lookback_scan_kernelILNS1_25lookback_scan_determinismE0ELb0ENS1_19wrapped_scan_configINS0_14default_configEaEEPKaPaSt10multipliesIaEaaNS1_19lookback_scan_stateIaLb1ELb1EEEEEvT2_T3_mT5_T4_T7_jPT6_SK_bb.uses_flat_scratch, 0
	.set _ZN7rocprim17ROCPRIM_304000_NS6detail20lookback_scan_kernelILNS1_25lookback_scan_determinismE0ELb0ENS1_19wrapped_scan_configINS0_14default_configEaEEPKaPaSt10multipliesIaEaaNS1_19lookback_scan_stateIaLb1ELb1EEEEEvT2_T3_mT5_T4_T7_jPT6_SK_bb.has_dyn_sized_stack, 0
	.set _ZN7rocprim17ROCPRIM_304000_NS6detail20lookback_scan_kernelILNS1_25lookback_scan_determinismE0ELb0ENS1_19wrapped_scan_configINS0_14default_configEaEEPKaPaSt10multipliesIaEaaNS1_19lookback_scan_stateIaLb1ELb1EEEEEvT2_T3_mT5_T4_T7_jPT6_SK_bb.has_recursion, 0
	.set _ZN7rocprim17ROCPRIM_304000_NS6detail20lookback_scan_kernelILNS1_25lookback_scan_determinismE0ELb0ENS1_19wrapped_scan_configINS0_14default_configEaEEPKaPaSt10multipliesIaEaaNS1_19lookback_scan_stateIaLb1ELb1EEEEEvT2_T3_mT5_T4_T7_jPT6_SK_bb.has_indirect_call, 0
	.section	.AMDGPU.csdata,"",@progbits
; Kernel info:
; codeLenInByte = 4
; TotalNumSgprs: 4
; NumVgprs: 0
; ScratchSize: 0
; MemoryBound: 0
; FloatMode: 240
; IeeeMode: 1
; LDSByteSize: 0 bytes/workgroup (compile time only)
; SGPRBlocks: 0
; VGPRBlocks: 0
; NumSGPRsForWavesPerEU: 4
; NumVGPRsForWavesPerEU: 1
; Occupancy: 10
; WaveLimiterHint : 0
; COMPUTE_PGM_RSRC2:SCRATCH_EN: 0
; COMPUTE_PGM_RSRC2:USER_SGPR: 6
; COMPUTE_PGM_RSRC2:TRAP_HANDLER: 0
; COMPUTE_PGM_RSRC2:TGID_X_EN: 1
; COMPUTE_PGM_RSRC2:TGID_Y_EN: 0
; COMPUTE_PGM_RSRC2:TGID_Z_EN: 0
; COMPUTE_PGM_RSRC2:TIDIG_COMP_CNT: 0
	.section	.text._ZN7rocprim17ROCPRIM_304000_NS6detail20lookback_scan_kernelILNS1_25lookback_scan_determinismE0ELb0ENS1_19wrapped_scan_configINS0_14default_configEaEEPKaPaSt10multipliesIaEaaNS1_19lookback_scan_stateIaLb0ELb1EEEEEvT2_T3_mT5_T4_T7_jPT6_SK_bb,"axG",@progbits,_ZN7rocprim17ROCPRIM_304000_NS6detail20lookback_scan_kernelILNS1_25lookback_scan_determinismE0ELb0ENS1_19wrapped_scan_configINS0_14default_configEaEEPKaPaSt10multipliesIaEaaNS1_19lookback_scan_stateIaLb0ELb1EEEEEvT2_T3_mT5_T4_T7_jPT6_SK_bb,comdat
	.protected	_ZN7rocprim17ROCPRIM_304000_NS6detail20lookback_scan_kernelILNS1_25lookback_scan_determinismE0ELb0ENS1_19wrapped_scan_configINS0_14default_configEaEEPKaPaSt10multipliesIaEaaNS1_19lookback_scan_stateIaLb0ELb1EEEEEvT2_T3_mT5_T4_T7_jPT6_SK_bb ; -- Begin function _ZN7rocprim17ROCPRIM_304000_NS6detail20lookback_scan_kernelILNS1_25lookback_scan_determinismE0ELb0ENS1_19wrapped_scan_configINS0_14default_configEaEEPKaPaSt10multipliesIaEaaNS1_19lookback_scan_stateIaLb0ELb1EEEEEvT2_T3_mT5_T4_T7_jPT6_SK_bb
	.globl	_ZN7rocprim17ROCPRIM_304000_NS6detail20lookback_scan_kernelILNS1_25lookback_scan_determinismE0ELb0ENS1_19wrapped_scan_configINS0_14default_configEaEEPKaPaSt10multipliesIaEaaNS1_19lookback_scan_stateIaLb0ELb1EEEEEvT2_T3_mT5_T4_T7_jPT6_SK_bb
	.p2align	8
	.type	_ZN7rocprim17ROCPRIM_304000_NS6detail20lookback_scan_kernelILNS1_25lookback_scan_determinismE0ELb0ENS1_19wrapped_scan_configINS0_14default_configEaEEPKaPaSt10multipliesIaEaaNS1_19lookback_scan_stateIaLb0ELb1EEEEEvT2_T3_mT5_T4_T7_jPT6_SK_bb,@function
_ZN7rocprim17ROCPRIM_304000_NS6detail20lookback_scan_kernelILNS1_25lookback_scan_determinismE0ELb0ENS1_19wrapped_scan_configINS0_14default_configEaEEPKaPaSt10multipliesIaEaaNS1_19lookback_scan_stateIaLb0ELb1EEEEEvT2_T3_mT5_T4_T7_jPT6_SK_bb: ; @_ZN7rocprim17ROCPRIM_304000_NS6detail20lookback_scan_kernelILNS1_25lookback_scan_determinismE0ELb0ENS1_19wrapped_scan_configINS0_14default_configEaEEPKaPaSt10multipliesIaEaaNS1_19lookback_scan_stateIaLb0ELb1EEEEEvT2_T3_mT5_T4_T7_jPT6_SK_bb
; %bb.0:
	s_load_dword s2, s[4:5], 0x28
	s_load_dwordx2 s[0:1], s[4:5], 0x10
	s_load_dwordx4 s[12:15], s[4:5], 0x0
	s_mul_i32 s21, s6, 0x1800
	s_waitcnt lgkmcnt(0)
	s_add_i32 s2, s2, -1
	s_mul_i32 s3, s2, 0x1800
	s_sub_u32 s7, s0, s3
	s_subb_u32 s20, s1, 0
	s_cmp_lg_u32 s6, s2
	s_cselect_b64 s[16:17], -1, 0
	s_add_u32 s2, s12, s21
	s_addc_u32 s3, s13, 0
	s_mov_b64 s[0:1], -1
	s_and_b64 vcc, exec, s[16:17]
	s_cbranch_vccz .LBB12_2
; %bb.1:
	v_mov_b32_e32 v1, s3
	v_add_co_u32_e32 v2, vcc, s2, v0
	s_movk_i32 s0, 0x1000
	v_addc_co_u32_e32 v11, vcc, 0, v1, vcc
	v_add_co_u32_e32 v1, vcc, s0, v2
	global_load_ubyte v3, v0, s[2:3]
	global_load_ubyte v4, v0, s[2:3] offset:256
	global_load_ubyte v5, v0, s[2:3] offset:512
	;; [unrolled: 1-line block ×7, first 2 shown]
	v_addc_co_u32_e32 v2, vcc, 0, v11, vcc
	global_load_ubyte v11, v0, s[2:3] offset:2048
	global_load_ubyte v12, v0, s[2:3] offset:2304
	;; [unrolled: 1-line block ×8, first 2 shown]
	global_load_ubyte v19, v[1:2], off
	global_load_ubyte v20, v[1:2], off offset:256
	global_load_ubyte v21, v[1:2], off offset:512
	;; [unrolled: 1-line block ×6, first 2 shown]
	s_nop 0
	global_load_ubyte v1, v[1:2], off offset:1792
	s_mov_b64 s[0:1], 0
	s_waitcnt vmcnt(23)
	ds_write_b8 v0, v3
	s_waitcnt vmcnt(22)
	ds_write_b8 v0, v4 offset:256
	s_waitcnt vmcnt(21)
	ds_write_b8 v0, v5 offset:512
	;; [unrolled: 2-line block ×23, first 2 shown]
	s_waitcnt lgkmcnt(0)
	s_barrier
.LBB12_2:
	s_andn2_b64 vcc, exec, s[0:1]
	v_cmp_gt_u32_e64 s[0:1], s7, v0
	s_cbranch_vccnz .LBB12_52
; %bb.3:
	v_mov_b32_e32 v1, 0
	global_load_ubyte v9, v1, s[2:3]
	v_mov_b32_e32 v1, s3
	v_add_co_u32_e32 v7, vcc, s2, v0
	v_addc_co_u32_e32 v8, vcc, 0, v1, vcc
	s_waitcnt vmcnt(0)
	v_readfirstlane_b32 s3, v9
	s_lshl_b32 s8, s3, 8
	s_or_b32 s3, s3, s8
	s_and_b32 s8, s3, 0xffff
	s_lshl_b32 s3, s3, 16
	s_or_b32 s8, s8, s3
	s_mov_b32 s9, s8
	s_mov_b32 s10, s8
	;; [unrolled: 1-line block ×5, first 2 shown]
	v_mov_b32_e32 v1, s8
	v_mov_b32_e32 v2, s9
	;; [unrolled: 1-line block ×6, first 2 shown]
	s_and_saveexec_b64 s[2:3], s[0:1]
	s_cbranch_execz .LBB12_5
; %bb.4:
	global_load_ubyte v9, v[7:8], off
	v_mov_b32_e32 v1, 0x3020104
	v_mov_b32_e32 v2, s8
	;; [unrolled: 1-line block ×6, first 2 shown]
	s_waitcnt vmcnt(0)
	v_perm_b32 v1, v9, s8, v1
.LBB12_5:
	s_or_b64 exec, exec, s[2:3]
	v_or_b32_e32 v10, 0x100, v0
	v_cmp_gt_u32_e32 vcc, s7, v10
	s_and_saveexec_b64 s[0:1], vcc
	s_cbranch_execz .LBB12_7
; %bb.6:
	global_load_ubyte v10, v[7:8], off offset:256
	s_mov_b32 s2, 0x7060004
	s_waitcnt vmcnt(0)
	v_perm_b32 v1, v1, v10, s2
.LBB12_7:
	s_or_b64 exec, exec, s[0:1]
	v_or_b32_e32 v10, 0x200, v0
	v_cmp_gt_u32_e32 vcc, s7, v10
	s_and_saveexec_b64 s[0:1], vcc
	s_cbranch_execz .LBB12_9
; %bb.8:
	global_load_ubyte v10, v[7:8], off offset:512
	s_mov_b32 s2, 0x7000504
	s_waitcnt vmcnt(0)
	v_perm_b32 v1, v1, v10, s2
.LBB12_9:
	;; [unrolled: 11-line block ×15, first 2 shown]
	s_or_b64 exec, exec, s[0:1]
	v_or_b32_e32 v10, 0x1000, v0
	v_cmp_gt_u32_e32 vcc, s7, v10
	s_and_saveexec_b64 s[0:1], vcc
	s_cbranch_execz .LBB12_37
; %bb.36:
	v_add_co_u32_e32 v10, vcc, 0x1000, v7
	v_addc_co_u32_e32 v11, vcc, 0, v8, vcc
	global_load_ubyte v10, v[10:11], off
	s_mov_b32 s2, 0x3020104
	s_waitcnt vmcnt(0)
	v_perm_b32 v5, v10, v5, s2
.LBB12_37:
	s_or_b64 exec, exec, s[0:1]
	v_or_b32_e32 v10, 0x1100, v0
	v_cmp_gt_u32_e32 vcc, s7, v10
	s_and_saveexec_b64 s[0:1], vcc
	s_cbranch_execz .LBB12_39
; %bb.38:
	v_add_co_u32_e32 v10, vcc, 0x1000, v7
	v_addc_co_u32_e32 v11, vcc, 0, v8, vcc
	global_load_ubyte v10, v[10:11], off offset:256
	s_mov_b32 s2, 0x7060004
	s_waitcnt vmcnt(0)
	v_perm_b32 v5, v5, v10, s2
.LBB12_39:
	s_or_b64 exec, exec, s[0:1]
	v_or_b32_e32 v10, 0x1200, v0
	v_cmp_gt_u32_e32 vcc, s7, v10
	s_and_saveexec_b64 s[0:1], vcc
	s_cbranch_execz .LBB12_41
; %bb.40:
	v_add_co_u32_e32 v10, vcc, 0x1000, v7
	v_addc_co_u32_e32 v11, vcc, 0, v8, vcc
	global_load_ubyte v10, v[10:11], off offset:512
	s_mov_b32 s2, 0x7000504
	s_waitcnt vmcnt(0)
	v_perm_b32 v5, v5, v10, s2
.LBB12_41:
	;; [unrolled: 13-line block ×7, first 2 shown]
	s_or_b64 exec, exec, s[0:1]
	v_lshrrev_b32_e32 v7, 8, v1
	ds_write_b8 v0, v9
	ds_write_b8 v0, v7 offset:256
	ds_write_b8_d16_hi v0, v1 offset:512
	v_lshrrev_b32_e32 v1, 24, v1
	ds_write_b8 v0, v1 offset:768
	ds_write_b8 v0, v2 offset:1024
	v_lshrrev_b32_e32 v1, 8, v2
	ds_write_b8 v0, v1 offset:1280
	ds_write_b8_d16_hi v0, v2 offset:1536
	v_lshrrev_b32_e32 v1, 24, v2
	ds_write_b8 v0, v1 offset:1792
	ds_write_b8 v0, v3 offset:2048
	v_lshrrev_b32_e32 v1, 8, v3
	;; [unrolled: 6-line block ×5, first 2 shown]
	ds_write_b8 v0, v1 offset:5376
	ds_write_b8_d16_hi v0, v6 offset:5632
	v_lshrrev_b32_e32 v1, 24, v6
	ds_write_b8 v0, v1 offset:5888
	s_waitcnt lgkmcnt(0)
	s_barrier
.LBB12_52:
	v_mul_u32_u24_e32 v13, 24, v0
	s_load_dwordx2 s[12:13], s[4:5], 0x20
	s_waitcnt lgkmcnt(0)
	ds_read2_b64 v[7:10], v13 offset1:1
	ds_read_b64 v[11:12], v13 offset:16
	s_cmp_lg_u32 s6, 0
	v_mbcnt_lo_u32_b32 v16, -1, 0
	v_lshrrev_b32_e32 v14, 6, v0
	v_or_b32_e32 v15, 63, v0
	s_waitcnt lgkmcnt(0)
	s_barrier
	s_cbranch_scc0 .LBB12_74
; %bb.53:
	v_lshrrev_b32_e32 v17, 8, v7
	v_mul_lo_u16_e32 v1, v17, v7
	v_mul_lo_u16_sdwa v1, v1, v7 dst_sel:DWORD dst_unused:UNUSED_PAD src0_sel:DWORD src1_sel:WORD_1
	v_mul_lo_u16_sdwa v1, v1, v7 dst_sel:DWORD dst_unused:UNUSED_PAD src0_sel:DWORD src1_sel:BYTE_3
	v_mul_lo_u16_e32 v1, v1, v8
	v_lshrrev_b32_e32 v18, 8, v8
	v_mul_lo_u16_e32 v1, v1, v18
	v_mul_lo_u16_sdwa v1, v1, v8 dst_sel:DWORD dst_unused:UNUSED_PAD src0_sel:DWORD src1_sel:WORD_1
	v_mul_lo_u16_sdwa v1, v1, v8 dst_sel:DWORD dst_unused:UNUSED_PAD src0_sel:DWORD src1_sel:BYTE_3
	v_mul_lo_u16_e32 v1, v1, v9
	;; [unrolled: 5-line block ×5, first 2 shown]
	v_lshrrev_b32_e32 v22, 8, v12
	v_mul_lo_u16_e32 v1, v1, v22
	v_mul_lo_u16_sdwa v1, v1, v12 dst_sel:DWORD dst_unused:UNUSED_PAD src0_sel:DWORD src1_sel:WORD_1
	v_mul_lo_u16_sdwa v1, v1, v12 dst_sel:DWORD dst_unused:UNUSED_PAD src0_sel:DWORD src1_sel:BYTE_3
	v_and_b32_e32 v2, 0xff, v1
	v_mbcnt_hi_u32_b32 v5, -1, v16
	v_and_b32_e32 v4, 15, v5
	v_mov_b32_dpp v3, v2 row_shr:1 row_mask:0xf bank_mask:0xf
	v_mul_lo_u16_e32 v3, v1, v3
	v_and_b32_e32 v6, 0xff, v3
	v_cmp_eq_u32_e32 vcc, 0, v4
	v_cndmask_b32_e32 v2, v6, v2, vcc
	v_cndmask_b32_e32 v1, v3, v1, vcc
	v_cmp_lt_u32_e32 vcc, 1, v4
	v_mov_b32_dpp v3, v2 row_shr:2 row_mask:0xf bank_mask:0xf
	v_mul_lo_u16_e32 v3, v1, v3
	v_and_b32_e32 v6, 0xff, v3
	v_cndmask_b32_e32 v2, v2, v6, vcc
	v_cndmask_b32_e32 v1, v1, v3, vcc
	v_cmp_lt_u32_e32 vcc, 3, v4
	v_mov_b32_dpp v3, v2 row_shr:4 row_mask:0xf bank_mask:0xf
	v_mul_lo_u16_e32 v3, v1, v3
	v_and_b32_e32 v6, 0xff, v3
	;; [unrolled: 6-line block ×3, first 2 shown]
	v_cndmask_b32_e32 v2, v2, v6, vcc
	v_cndmask_b32_e32 v1, v1, v3, vcc
	v_and_b32_e32 v4, 16, v5
	v_mov_b32_dpp v3, v2 row_bcast:15 row_mask:0xf bank_mask:0xf
	v_mul_lo_u16_e32 v3, v1, v3
	v_and_b32_e32 v6, 0xff, v3
	v_cmp_eq_u32_e32 vcc, 0, v4
	v_cndmask_b32_e32 v2, v6, v2, vcc
	v_cndmask_b32_e32 v1, v3, v1, vcc
	v_cmp_lt_u32_e32 vcc, 31, v5
	v_mov_b32_dpp v2, v2 row_bcast:31 row_mask:0xf bank_mask:0xf
	v_cndmask_b32_e32 v2, 1, v2, vcc
	v_mul_lo_u16_e32 v1, v1, v2
	v_cmp_eq_u32_e32 vcc, v0, v15
	s_and_saveexec_b64 s[0:1], vcc
; %bb.54:
	ds_write_b8 v14, v1
; %bb.55:
	s_or_b64 exec, exec, s[0:1]
	v_cmp_gt_u32_e32 vcc, 4, v0
	s_waitcnt lgkmcnt(0)
	s_barrier
	s_and_saveexec_b64 s[0:1], vcc
	s_cbranch_execz .LBB12_57
; %bb.56:
	ds_read_u8 v2, v0
	v_and_b32_e32 v3, 3, v5
	v_cmp_eq_u32_e32 vcc, 0, v3
	s_waitcnt lgkmcnt(0)
	v_and_b32_e32 v4, 0xff, v2
	s_nop 1
	v_mov_b32_dpp v6, v4 row_shr:1 row_mask:0xf bank_mask:0xf
	v_mul_lo_u16_e32 v6, v2, v6
	v_cndmask_b32_sdwa v4, v6, v4, vcc dst_sel:DWORD dst_unused:UNUSED_PAD src0_sel:BYTE_0 src1_sel:DWORD
	v_cndmask_b32_e32 v2, v6, v2, vcc
	v_cmp_lt_u32_e32 vcc, 1, v3
	v_mov_b32_dpp v4, v4 row_shr:2 row_mask:0xf bank_mask:0xf
	v_cndmask_b32_e32 v3, 1, v4, vcc
	v_mul_lo_u16_e32 v2, v2, v3
	ds_write_b8 v0, v2
.LBB12_57:
	s_or_b64 exec, exec, s[0:1]
	v_cmp_gt_u32_e32 vcc, 64, v0
	v_cmp_lt_u32_e64 s[0:1], 63, v0
	s_waitcnt lgkmcnt(0)
	s_barrier
                                        ; implicit-def: $vgpr23
	s_and_saveexec_b64 s[2:3], s[0:1]
	s_cbranch_execz .LBB12_59
; %bb.58:
	v_add_u32_e32 v2, -1, v14
	ds_read_u8 v23, v2
	s_waitcnt lgkmcnt(0)
	v_mul_lo_u16_e32 v1, v23, v1
.LBB12_59:
	s_or_b64 exec, exec, s[2:3]
	v_subrev_co_u32_e64 v2, s[0:1], 1, v5
	v_and_b32_e32 v3, 64, v5
	v_cmp_lt_i32_e64 s[2:3], v2, v3
	v_cndmask_b32_e64 v2, v2, v5, s[2:3]
	v_lshlrev_b32_e32 v2, 2, v2
	v_and_b32_e32 v1, 0xff, v1
	ds_bpermute_b32 v24, v2, v1
	s_and_saveexec_b64 s[18:19], vcc
	s_cbranch_execz .LBB12_79
; %bb.60:
	v_mov_b32_e32 v3, 0
	ds_read_u8 v25, v3 offset:3
	s_and_saveexec_b64 s[2:3], s[0:1]
	s_cbranch_execz .LBB12_62
; %bb.61:
	s_movk_i32 s8, 0x100
	s_waitcnt lgkmcnt(0)
	v_or_b32_sdwa v1, v25, s8 dst_sel:DWORD dst_unused:UNUSED_PAD src0_sel:BYTE_0 src1_sel:DWORD
	s_add_i32 s8, s6, 64
	s_mov_b32 s9, 0
	s_lshl_b64 s[8:9], s[8:9], 1
	s_add_u32 s8, s12, s8
	s_addc_u32 s9, s13, s9
	global_store_short v3, v1, s[8:9]
.LBB12_62:
	s_or_b64 exec, exec, s[2:3]
	v_xad_u32 v1, v5, -1, s6
	v_add_u32_e32 v2, 64, v1
	v_lshlrev_b64 v[2:3], 1, v[2:3]
	v_mov_b32_e32 v4, s13
	v_add_co_u32_e32 v2, vcc, s12, v2
	v_addc_co_u32_e32 v3, vcc, v4, v3, vcc
	global_load_ushort v6, v[2:3], off glc
	s_waitcnt vmcnt(0)
	v_lshrrev_b16_e32 v26, 8, v6
	v_cmp_eq_u16_e32 vcc, 0, v26
	s_and_saveexec_b64 s[2:3], vcc
	s_cbranch_execz .LBB12_66
; %bb.63:
	s_mov_b64 s[8:9], 0
	v_mov_b32_e32 v4, 0
.LBB12_64:                              ; =>This Inner Loop Header: Depth=1
	global_load_ushort v6, v[2:3], off glc
	s_waitcnt vmcnt(0)
	v_cmp_ne_u16_sdwa s[10:11], v6, v4 src0_sel:BYTE_1 src1_sel:DWORD
	s_or_b64 s[8:9], s[10:11], s[8:9]
	v_lshrrev_b16_e32 v26, 8, v6
	s_andn2_b64 exec, exec, s[8:9]
	s_cbranch_execnz .LBB12_64
; %bb.65:
	s_or_b64 exec, exec, s[8:9]
.LBB12_66:
	s_or_b64 exec, exec, s[2:3]
	v_lshlrev_b64 v[3:4], v5, -1
	v_cmp_eq_u16_e32 vcc, 2, v26
	v_and_b32_e32 v35, 63, v5
	v_and_b32_e32 v2, vcc_hi, v4
	v_and_b32_e32 v28, vcc_lo, v3
	v_cmp_ne_u32_e32 vcc, 63, v35
	v_addc_co_u32_e32 v27, vcc, 0, v5, vcc
	v_lshlrev_b32_e32 v27, 2, v27
	v_and_b32_e32 v29, 0xff, v6
	ds_bpermute_b32 v30, v27, v29
	v_or_b32_e32 v2, 0x80000000, v2
	v_ffbl_b32_e32 v2, v2
	v_add_u32_e32 v2, 32, v2
	v_ffbl_b32_e32 v28, v28
	v_min_u32_e32 v2, v28, v2
	v_add_u32_e32 v28, 1, v5
	s_waitcnt lgkmcnt(0)
	v_mul_lo_u16_e32 v30, v6, v30
	v_and_b32_e32 v31, 0xff, v30
	v_cmp_le_u32_e32 vcc, v28, v2
	v_cmp_gt_u32_e64 s[2:3], 62, v35
	v_cndmask_b32_e32 v31, v29, v31, vcc
	v_cndmask_b32_e64 v29, 0, 2, s[2:3]
	v_add_lshl_u32 v29, v29, v5, 2
	ds_bpermute_b32 v32, v29, v31
	v_cndmask_b32_e32 v33, v6, v30, vcc
	v_add_u32_e32 v30, 2, v5
	v_cmp_le_u32_e64 s[2:3], v30, v2
	v_cmp_gt_u32_e64 s[8:9], 60, v35
	s_waitcnt lgkmcnt(0)
	v_mul_lo_u16_e32 v32, v33, v32
	v_and_b32_e32 v34, 0xff, v32
	v_cndmask_b32_e64 v34, v31, v34, s[2:3]
	v_cndmask_b32_e64 v31, 0, 4, s[8:9]
	v_add_lshl_u32 v31, v31, v5, 2
	ds_bpermute_b32 v36, v31, v34
	v_cndmask_b32_e64 v37, v33, v32, s[2:3]
	v_add_u32_e32 v32, 4, v5
	v_cmp_le_u32_e64 s[8:9], v32, v2
	v_cmp_gt_u32_e64 s[10:11], 56, v35
	s_waitcnt lgkmcnt(0)
	v_mul_lo_u16_e32 v36, v37, v36
	v_and_b32_e32 v33, 0xff, v36
	v_cndmask_b32_e64 v38, v34, v33, s[8:9]
	v_cndmask_b32_e64 v33, 0, 8, s[10:11]
	v_add_lshl_u32 v33, v33, v5, 2
	ds_bpermute_b32 v39, v33, v38
	v_cndmask_b32_e64 v36, v37, v36, s[8:9]
	s_or_b64 s[10:11], vcc, s[2:3]
	v_add_u32_e32 v34, 8, v5
	v_cmp_gt_u32_e64 s[2:3], 48, v35
	s_waitcnt lgkmcnt(0)
	v_mul_lo_u16_e32 v37, v36, v39
	v_and_b32_e32 v39, 0xff, v37
	v_cmp_le_u32_e32 vcc, v34, v2
	v_cndmask_b32_e64 v35, 0, 16, s[2:3]
	v_cndmask_b32_e32 v38, v38, v39, vcc
	v_add_lshl_u32 v35, v35, v5, 2
	ds_bpermute_b32 v39, v35, v38
	v_cndmask_b32_e32 v36, v36, v37, vcc
	s_or_b64 s[2:3], s[8:9], s[10:11]
	v_add_u32_e32 v37, 16, v5
	s_or_b64 s[2:3], vcc, s[2:3]
	s_waitcnt lgkmcnt(0)
	v_mul_lo_u16_e32 v40, v36, v39
	v_and_b32_e32 v39, 0xff, v40
	v_cmp_le_u32_e32 vcc, v37, v2
	v_cndmask_b32_e32 v39, v38, v39, vcc
	v_mov_b32_e32 v38, 0x80
	v_lshl_or_b32 v38, v5, 2, v38
	ds_bpermute_b32 v41, v38, v39
	v_add_u32_e32 v39, 32, v5
	s_or_b64 s[2:3], vcc, s[2:3]
	v_cndmask_b32_e32 v5, v36, v40, vcc
	v_cmp_le_u32_e32 vcc, v39, v2
	s_waitcnt lgkmcnt(0)
	v_cndmask_b32_e32 v2, 1, v41, vcc
	v_mul_lo_u16_e32 v2, v5, v2
	s_or_b64 vcc, vcc, s[2:3]
	v_cndmask_b32_e32 v5, v6, v2, vcc
	v_mov_b32_e32 v2, 0
	v_mov_b32_e32 v40, 2
	s_branch .LBB12_70
.LBB12_67:                              ;   in Loop: Header=BB12_70 Depth=1
	s_or_b64 exec, exec, s[8:9]
.LBB12_68:                              ;   in Loop: Header=BB12_70 Depth=1
	s_or_b64 exec, exec, s[2:3]
	v_and_b32_e32 v42, 0xff, v41
	v_cmp_eq_u16_e32 vcc, 2, v26
	ds_bpermute_b32 v43, v27, v42
	v_and_b32_e32 v5, vcc_hi, v4
	v_or_b32_e32 v5, 0x80000000, v5
	v_and_b32_e32 v6, vcc_lo, v3
	v_ffbl_b32_e32 v5, v5
	v_add_u32_e32 v5, 32, v5
	v_ffbl_b32_e32 v6, v6
	v_min_u32_e32 v5, v6, v5
	s_waitcnt lgkmcnt(0)
	v_mul_lo_u16_e32 v6, v41, v43
	v_and_b32_e32 v43, 0xff, v6
	v_cmp_le_u32_e32 vcc, v28, v5
	v_cndmask_b32_e32 v42, v42, v43, vcc
	ds_bpermute_b32 v43, v29, v42
	v_cndmask_b32_e32 v6, v41, v6, vcc
	v_cmp_le_u32_e64 s[2:3], v30, v5
	v_cmp_le_u32_e64 s[8:9], v32, v5
	;; [unrolled: 1-line block ×3, first 2 shown]
	s_waitcnt lgkmcnt(0)
	v_mul_lo_u16_e32 v43, v6, v43
	v_and_b32_e32 v44, 0xff, v43
	v_cndmask_b32_e64 v42, v42, v44, s[2:3]
	ds_bpermute_b32 v44, v31, v42
	v_cndmask_b32_e64 v6, v6, v43, s[2:3]
	s_or_b64 s[2:3], vcc, s[2:3]
	v_cmp_le_u32_e32 vcc, v37, v5
	s_or_b64 s[2:3], s[8:9], s[2:3]
	s_waitcnt lgkmcnt(0)
	v_mul_lo_u16_e32 v43, v6, v44
	v_and_b32_e32 v44, 0xff, v43
	v_cndmask_b32_e64 v42, v42, v44, s[8:9]
	ds_bpermute_b32 v44, v33, v42
	v_cndmask_b32_e64 v6, v6, v43, s[8:9]
	s_or_b64 s[2:3], s[10:11], s[2:3]
	s_or_b64 s[2:3], vcc, s[2:3]
	v_subrev_u32_e32 v1, 64, v1
	s_waitcnt lgkmcnt(0)
	v_mul_lo_u16_e32 v43, v6, v44
	v_and_b32_e32 v44, 0xff, v43
	v_cndmask_b32_e64 v42, v42, v44, s[10:11]
	ds_bpermute_b32 v44, v35, v42
	v_cndmask_b32_e64 v6, v6, v43, s[10:11]
	s_waitcnt lgkmcnt(0)
	v_mul_lo_u16_e32 v43, v6, v44
	v_and_b32_e32 v44, 0xff, v43
	v_cndmask_b32_e32 v42, v42, v44, vcc
	ds_bpermute_b32 v42, v38, v42
	v_cndmask_b32_e32 v6, v6, v43, vcc
	v_cmp_le_u32_e32 vcc, v39, v5
	s_waitcnt lgkmcnt(0)
	v_cndmask_b32_e32 v5, 1, v42, vcc
	v_mul_lo_u16_e32 v5, v6, v5
	s_or_b64 vcc, vcc, s[2:3]
	v_cndmask_b32_e32 v5, v41, v5, vcc
	v_mul_lo_u16_e32 v5, v5, v36
	s_mov_b64 s[2:3], 0
.LBB12_69:                              ;   in Loop: Header=BB12_70 Depth=1
	s_and_b64 vcc, exec, s[2:3]
	s_cbranch_vccnz .LBB12_75
.LBB12_70:                              ; =>This Loop Header: Depth=1
                                        ;     Child Loop BB12_73 Depth 2
	v_cmp_ne_u16_sdwa s[2:3], v26, v40 src0_sel:BYTE_0 src1_sel:DWORD
	v_mov_b32_e32 v36, v5
	s_cmp_lg_u64 s[2:3], exec
	s_mov_b64 s[2:3], -1
                                        ; implicit-def: $vgpr5
                                        ; implicit-def: $vgpr26
	s_cbranch_scc1 .LBB12_69
; %bb.71:                               ;   in Loop: Header=BB12_70 Depth=1
	v_lshlrev_b64 v[5:6], 1, v[1:2]
	v_mov_b32_e32 v26, s13
	v_add_co_u32_e32 v5, vcc, s12, v5
	v_addc_co_u32_e32 v6, vcc, v26, v6, vcc
	global_load_ushort v41, v[5:6], off glc
	s_waitcnt vmcnt(0)
	v_lshrrev_b16_e32 v26, 8, v41
	v_cmp_eq_u16_e32 vcc, 0, v26
	s_and_saveexec_b64 s[2:3], vcc
	s_cbranch_execz .LBB12_68
; %bb.72:                               ;   in Loop: Header=BB12_70 Depth=1
	s_mov_b64 s[8:9], 0
.LBB12_73:                              ;   Parent Loop BB12_70 Depth=1
                                        ; =>  This Inner Loop Header: Depth=2
	global_load_ushort v41, v[5:6], off glc
	s_waitcnt vmcnt(0)
	v_lshrrev_b16_e32 v26, 8, v41
	v_cmp_ne_u16_e32 vcc, 0, v26
	s_or_b64 s[8:9], vcc, s[8:9]
	s_andn2_b64 exec, exec, s[8:9]
	s_cbranch_execnz .LBB12_73
	s_branch .LBB12_67
.LBB12_74:
                                        ; implicit-def: $vgpr1_vgpr2_vgpr3_vgpr4_vgpr5_vgpr6
	s_load_dwordx4 s[8:11], s[4:5], 0x30
	s_cbranch_execnz .LBB12_80
	s_branch .LBB12_91
.LBB12_75:
	s_and_saveexec_b64 s[2:3], s[0:1]
	s_cbranch_execz .LBB12_77
; %bb.76:
	s_add_i32 s8, s6, 64
	s_mov_b32 s9, 0
	s_lshl_b64 s[8:9], s[8:9], 1
	v_mul_lo_u16_e32 v1, v36, v25
	s_add_u32 s8, s12, s8
	s_movk_i32 s6, 0x200
	s_addc_u32 s9, s13, s9
	v_mov_b32_e32 v2, 0
	v_or_b32_sdwa v1, v1, s6 dst_sel:DWORD dst_unused:UNUSED_PAD src0_sel:BYTE_0 src1_sel:DWORD
	global_store_short v2, v1, s[8:9]
.LBB12_77:
	s_or_b64 exec, exec, s[2:3]
	v_cmp_eq_u32_e32 vcc, 0, v0
	s_and_b64 exec, exec, vcc
; %bb.78:
	v_mov_b32_e32 v1, 0
	ds_write_b8 v1, v36 offset:3
.LBB12_79:
	s_or_b64 exec, exec, s[18:19]
	v_mov_b32_e32 v1, 0
	s_waitcnt vmcnt(0) lgkmcnt(0)
	s_barrier
	ds_read_u8 v1, v1 offset:3
	v_cndmask_b32_e64 v2, v24, v23, s[0:1]
	v_cmp_ne_u32_e32 vcc, 0, v0
	v_cndmask_b32_e32 v2, 1, v2, vcc
	v_mul_lo_u16_e32 v2, v2, v7
	s_waitcnt lgkmcnt(0)
	v_mul_lo_u16_e32 v1, v2, v1
	v_mul_lo_u16_e32 v2, v1, v17
	v_mul_lo_u16_sdwa v3, v2, v7 dst_sel:DWORD dst_unused:UNUSED_PAD src0_sel:DWORD src1_sel:WORD_1
	v_mul_lo_u16_sdwa v4, v3, v7 dst_sel:DWORD dst_unused:UNUSED_PAD src0_sel:DWORD src1_sel:BYTE_3
	v_mul_lo_u16_e32 v5, v4, v8
	v_mul_lo_u16_e32 v6, v5, v18
	v_mul_lo_u16_sdwa v17, v6, v8 dst_sel:DWORD dst_unused:UNUSED_PAD src0_sel:DWORD src1_sel:WORD_1
	v_mul_lo_u16_sdwa v18, v17, v8 dst_sel:DWORD dst_unused:UNUSED_PAD src0_sel:DWORD src1_sel:BYTE_3
	;; [unrolled: 4-line block ×3, first 2 shown]
	v_mul_lo_u16_e32 v26, v25, v10
	v_lshlrev_b16_e32 v2, 8, v2
	v_mul_lo_u16_e32 v20, v26, v20
	v_or_b32_sdwa v1, v1, v2 dst_sel:DWORD dst_unused:UNUSED_PAD src0_sel:BYTE_0 src1_sel:DWORD
	v_lshlrev_b16_e32 v2, 8, v4
	v_mul_lo_u16_sdwa v27, v20, v10 dst_sel:DWORD dst_unused:UNUSED_PAD src0_sel:DWORD src1_sel:WORD_1
	v_or_b32_sdwa v2, v3, v2 dst_sel:WORD_1 dst_unused:UNUSED_PAD src0_sel:BYTE_0 src1_sel:DWORD
	v_mul_lo_u16_sdwa v28, v27, v10 dst_sel:DWORD dst_unused:UNUSED_PAD src0_sel:DWORD src1_sel:BYTE_3
	v_or_b32_sdwa v1, v1, v2 dst_sel:DWORD dst_unused:UNUSED_PAD src0_sel:WORD_0 src1_sel:DWORD
	v_lshlrev_b16_e32 v2, 8, v6
	v_lshlrev_b16_e32 v3, 8, v18
	v_mul_lo_u16_e32 v29, v28, v11
	v_or_b32_sdwa v2, v5, v2 dst_sel:DWORD dst_unused:UNUSED_PAD src0_sel:BYTE_0 src1_sel:DWORD
	v_or_b32_sdwa v3, v17, v3 dst_sel:WORD_1 dst_unused:UNUSED_PAD src0_sel:BYTE_0 src1_sel:DWORD
	v_mul_lo_u16_e32 v21, v29, v21
	v_or_b32_sdwa v2, v2, v3 dst_sel:DWORD dst_unused:UNUSED_PAD src0_sel:WORD_0 src1_sel:DWORD
	v_lshlrev_b16_e32 v3, 8, v19
	v_lshlrev_b16_e32 v4, 8, v25
	v_mul_lo_u16_sdwa v30, v21, v11 dst_sel:DWORD dst_unused:UNUSED_PAD src0_sel:DWORD src1_sel:WORD_1
	v_or_b32_sdwa v3, v23, v3 dst_sel:DWORD dst_unused:UNUSED_PAD src0_sel:BYTE_0 src1_sel:DWORD
	v_or_b32_sdwa v4, v24, v4 dst_sel:WORD_1 dst_unused:UNUSED_PAD src0_sel:BYTE_0 src1_sel:DWORD
	v_mul_lo_u16_sdwa v31, v30, v11 dst_sel:DWORD dst_unused:UNUSED_PAD src0_sel:DWORD src1_sel:BYTE_3
	v_or_b32_sdwa v3, v3, v4 dst_sel:DWORD dst_unused:UNUSED_PAD src0_sel:WORD_0 src1_sel:DWORD
	v_lshlrev_b16_e32 v4, 8, v20
	v_lshlrev_b16_e32 v5, 8, v28
	v_mul_lo_u16_e32 v32, v31, v12
	v_or_b32_sdwa v4, v26, v4 dst_sel:DWORD dst_unused:UNUSED_PAD src0_sel:BYTE_0 src1_sel:DWORD
	v_or_b32_sdwa v5, v27, v5 dst_sel:WORD_1 dst_unused:UNUSED_PAD src0_sel:BYTE_0 src1_sel:DWORD
	v_mul_lo_u16_e32 v22, v32, v22
	v_or_b32_sdwa v4, v4, v5 dst_sel:DWORD dst_unused:UNUSED_PAD src0_sel:WORD_0 src1_sel:DWORD
	v_lshlrev_b16_e32 v5, 8, v21
	v_lshlrev_b16_e32 v6, 8, v31
	v_mul_lo_u16_sdwa v33, v22, v12 dst_sel:DWORD dst_unused:UNUSED_PAD src0_sel:DWORD src1_sel:WORD_1
	v_or_b32_sdwa v5, v29, v5 dst_sel:DWORD dst_unused:UNUSED_PAD src0_sel:BYTE_0 src1_sel:DWORD
	v_or_b32_sdwa v6, v30, v6 dst_sel:WORD_1 dst_unused:UNUSED_PAD src0_sel:BYTE_0 src1_sel:DWORD
	v_mul_lo_u16_sdwa v34, v33, v12 dst_sel:BYTE_1 dst_unused:UNUSED_PAD src0_sel:DWORD src1_sel:BYTE_3
	v_or_b32_sdwa v5, v5, v6 dst_sel:DWORD dst_unused:UNUSED_PAD src0_sel:WORD_0 src1_sel:DWORD
	v_lshlrev_b16_e32 v6, 8, v22
	v_or_b32_sdwa v6, v32, v6 dst_sel:DWORD dst_unused:UNUSED_PAD src0_sel:BYTE_0 src1_sel:DWORD
	v_or_b32_sdwa v17, v33, v34 dst_sel:WORD_1 dst_unused:UNUSED_PAD src0_sel:BYTE_0 src1_sel:DWORD
	v_or_b32_sdwa v6, v6, v17 dst_sel:DWORD dst_unused:UNUSED_PAD src0_sel:WORD_0 src1_sel:DWORD
	s_load_dwordx4 s[8:11], s[4:5], 0x30
	s_branch .LBB12_91
.LBB12_80:
	s_load_dword s0, s[4:5], 0x40
	s_waitcnt lgkmcnt(0)
	s_bitcmp1_b32 s0, 0
	s_cselect_b64 s[2:3], -1, 0
	v_cmp_eq_u32_e64 s[0:1], 0, v0
	s_and_b64 s[18:19], s[0:1], s[2:3]
	s_and_saveexec_b64 s[2:3], s[18:19]
	s_cbranch_execz .LBB12_82
; %bb.81:
	v_mov_b32_e32 v1, 0
	global_load_ubyte v1, v1, s[8:9]
	s_mov_b32 s6, 0x3020104
	s_waitcnt vmcnt(0)
	v_mul_lo_u16_e32 v1, v1, v7
	v_perm_b32 v7, v1, v7, s6
.LBB12_82:
	s_or_b64 exec, exec, s[2:3]
	v_lshrrev_b32_e32 v5, 8, v7
	v_mul_lo_u16_e32 v4, v5, v7
	v_mul_lo_u16_sdwa v4, v4, v7 dst_sel:DWORD dst_unused:UNUSED_PAD src0_sel:DWORD src1_sel:WORD_1
	v_mul_lo_u16_sdwa v4, v4, v7 dst_sel:DWORD dst_unused:UNUSED_PAD src0_sel:DWORD src1_sel:BYTE_3
	v_lshrrev_b32_e32 v2, 8, v8
	v_mul_lo_u16_e32 v4, v4, v8
	v_mul_lo_u16_e32 v4, v4, v2
	v_mul_lo_u16_sdwa v4, v4, v8 dst_sel:DWORD dst_unused:UNUSED_PAD src0_sel:DWORD src1_sel:WORD_1
	v_mul_lo_u16_sdwa v4, v4, v8 dst_sel:DWORD dst_unused:UNUSED_PAD src0_sel:DWORD src1_sel:BYTE_3
	v_mul_lo_u16_e32 v4, v4, v9
	v_lshrrev_b32_e32 v6, 8, v9
	v_mul_lo_u16_e32 v4, v4, v6
	v_mul_lo_u16_sdwa v4, v4, v9 dst_sel:DWORD dst_unused:UNUSED_PAD src0_sel:DWORD src1_sel:WORD_1
	v_mul_lo_u16_sdwa v4, v4, v9 dst_sel:DWORD dst_unused:UNUSED_PAD src0_sel:DWORD src1_sel:BYTE_3
	v_lshrrev_b32_e32 v1, 8, v10
	v_mul_lo_u16_e32 v4, v4, v10
	v_mul_lo_u16_e32 v4, v4, v1
	v_mul_lo_u16_sdwa v4, v4, v10 dst_sel:DWORD dst_unused:UNUSED_PAD src0_sel:DWORD src1_sel:WORD_1
	v_mul_lo_u16_sdwa v4, v4, v10 dst_sel:DWORD dst_unused:UNUSED_PAD src0_sel:DWORD src1_sel:BYTE_3
	v_mul_lo_u16_e32 v17, v4, v11
	v_lshrrev_b32_e32 v4, 8, v11
	v_mul_lo_u16_e32 v17, v17, v4
	v_mul_lo_u16_sdwa v17, v17, v11 dst_sel:DWORD dst_unused:UNUSED_PAD src0_sel:DWORD src1_sel:WORD_1
	v_mul_lo_u16_sdwa v17, v17, v11 dst_sel:DWORD dst_unused:UNUSED_PAD src0_sel:DWORD src1_sel:BYTE_3
	v_lshrrev_b32_e32 v3, 8, v12
	v_mul_lo_u16_e32 v17, v17, v12
	v_mul_lo_u16_e32 v17, v17, v3
	v_mul_lo_u16_sdwa v17, v17, v12 dst_sel:DWORD dst_unused:UNUSED_PAD src0_sel:DWORD src1_sel:WORD_1
	v_mul_lo_u16_sdwa v17, v17, v12 dst_sel:DWORD dst_unused:UNUSED_PAD src0_sel:DWORD src1_sel:BYTE_3
	v_and_b32_e32 v19, 0xff, v17
	v_mbcnt_hi_u32_b32 v16, -1, v16
	v_and_b32_e32 v18, 15, v16
	v_mov_b32_dpp v20, v19 row_shr:1 row_mask:0xf bank_mask:0xf
	v_mul_lo_u16_e32 v20, v17, v20
	v_and_b32_e32 v21, 0xff, v20
	v_cmp_eq_u32_e32 vcc, 0, v18
	v_cndmask_b32_e32 v19, v21, v19, vcc
	v_cndmask_b32_e32 v17, v20, v17, vcc
	v_cmp_lt_u32_e32 vcc, 1, v18
	v_mov_b32_dpp v20, v19 row_shr:2 row_mask:0xf bank_mask:0xf
	v_mul_lo_u16_e32 v20, v17, v20
	v_and_b32_e32 v21, 0xff, v20
	v_cndmask_b32_e32 v19, v19, v21, vcc
	v_cndmask_b32_e32 v17, v17, v20, vcc
	v_cmp_lt_u32_e32 vcc, 3, v18
	v_mov_b32_dpp v20, v19 row_shr:4 row_mask:0xf bank_mask:0xf
	v_mul_lo_u16_e32 v20, v17, v20
	v_and_b32_e32 v21, 0xff, v20
	;; [unrolled: 6-line block ×3, first 2 shown]
	v_cndmask_b32_e32 v18, v19, v21, vcc
	v_cndmask_b32_e32 v17, v17, v20, vcc
	v_and_b32_e32 v20, 16, v16
	v_mov_b32_dpp v19, v18 row_bcast:15 row_mask:0xf bank_mask:0xf
	v_mul_lo_u16_e32 v19, v17, v19
	v_and_b32_e32 v21, 0xff, v19
	v_cmp_eq_u32_e32 vcc, 0, v20
	v_cndmask_b32_e32 v18, v21, v18, vcc
	v_cndmask_b32_e32 v17, v19, v17, vcc
	v_cmp_lt_u32_e32 vcc, 31, v16
	v_mov_b32_dpp v18, v18 row_bcast:31 row_mask:0xf bank_mask:0xf
	v_cndmask_b32_e32 v18, 1, v18, vcc
	v_mul_lo_u16_e32 v17, v17, v18
	v_cmp_eq_u32_e32 vcc, v0, v15
	s_and_saveexec_b64 s[2:3], vcc
; %bb.83:
	ds_write_b8 v14, v17
; %bb.84:
	s_or_b64 exec, exec, s[2:3]
	v_cmp_gt_u32_e32 vcc, 4, v0
	s_waitcnt lgkmcnt(0)
	s_barrier
	s_and_saveexec_b64 s[2:3], vcc
	s_cbranch_execz .LBB12_86
; %bb.85:
	ds_read_u8 v15, v0
	v_and_b32_e32 v18, 3, v16
	v_cmp_eq_u32_e32 vcc, 0, v18
	s_waitcnt lgkmcnt(0)
	v_and_b32_e32 v19, 0xff, v15
	s_nop 1
	v_mov_b32_dpp v20, v19 row_shr:1 row_mask:0xf bank_mask:0xf
	v_mul_lo_u16_e32 v20, v15, v20
	v_cndmask_b32_sdwa v19, v20, v19, vcc dst_sel:DWORD dst_unused:UNUSED_PAD src0_sel:BYTE_0 src1_sel:DWORD
	v_cndmask_b32_e32 v15, v20, v15, vcc
	v_cmp_lt_u32_e32 vcc, 1, v18
	v_mov_b32_dpp v19, v19 row_shr:2 row_mask:0xf bank_mask:0xf
	v_cndmask_b32_e32 v18, 1, v19, vcc
	v_mul_lo_u16_e32 v15, v15, v18
	ds_write_b8 v0, v15
.LBB12_86:
	s_or_b64 exec, exec, s[2:3]
	v_cmp_lt_u32_e32 vcc, 63, v0
	s_waitcnt lgkmcnt(0)
	s_barrier
                                        ; implicit-def: $vgpr15
	s_and_saveexec_b64 s[2:3], vcc
	s_cbranch_execz .LBB12_88
; %bb.87:
	v_add_u32_e32 v14, -1, v14
	ds_read_u8 v15, v14
	s_waitcnt lgkmcnt(0)
	v_mul_lo_u16_e32 v17, v15, v17
.LBB12_88:
	s_or_b64 exec, exec, s[2:3]
	v_subrev_co_u32_e32 v14, vcc, 1, v16
	v_and_b32_e32 v18, 64, v16
	v_cmp_lt_i32_e64 s[2:3], v14, v18
	v_cndmask_b32_e64 v14, v14, v16, s[2:3]
	v_lshlrev_b32_e32 v14, 2, v14
	v_and_b32_e32 v16, 0xff, v17
	ds_bpermute_b32 v14, v14, v16
	s_waitcnt lgkmcnt(0)
	v_cndmask_b32_e32 v14, v14, v15, vcc
	v_cndmask_b32_e64 v14, v14, 1, s[0:1]
	v_mul_lo_u16_e32 v14, v14, v7
	v_mul_lo_u16_e32 v5, v14, v5
	v_mul_lo_u16_sdwa v15, v5, v7 dst_sel:DWORD dst_unused:UNUSED_PAD src0_sel:DWORD src1_sel:WORD_1
	v_mul_lo_u16_sdwa v7, v15, v7 dst_sel:DWORD dst_unused:UNUSED_PAD src0_sel:DWORD src1_sel:BYTE_3
	v_mul_lo_u16_e32 v16, v7, v8
	v_mul_lo_u16_e32 v2, v16, v2
	v_mul_lo_u16_sdwa v17, v2, v8 dst_sel:DWORD dst_unused:UNUSED_PAD src0_sel:DWORD src1_sel:WORD_1
	v_mul_lo_u16_sdwa v8, v17, v8 dst_sel:DWORD dst_unused:UNUSED_PAD src0_sel:DWORD src1_sel:BYTE_3
	;; [unrolled: 4-line block ×3, first 2 shown]
	v_mul_lo_u16_e32 v20, v9, v10
	v_mul_lo_u16_e32 v21, v20, v1
	v_mul_lo_u16_sdwa v22, v21, v10 dst_sel:DWORD dst_unused:UNUSED_PAD src0_sel:DWORD src1_sel:WORD_1
	v_lshlrev_b16_e32 v1, 8, v5
	v_lshlrev_b16_e32 v5, 8, v7
	v_mul_lo_u16_sdwa v10, v22, v10 dst_sel:DWORD dst_unused:UNUSED_PAD src0_sel:DWORD src1_sel:BYTE_3
	v_or_b32_sdwa v1, v14, v1 dst_sel:DWORD dst_unused:UNUSED_PAD src0_sel:BYTE_0 src1_sel:DWORD
	v_or_b32_sdwa v5, v15, v5 dst_sel:WORD_1 dst_unused:UNUSED_PAD src0_sel:BYTE_0 src1_sel:DWORD
	v_lshlrev_b16_e32 v2, 8, v2
	v_lshlrev_b16_e32 v7, 8, v8
	v_or_b32_sdwa v2, v16, v2 dst_sel:DWORD dst_unused:UNUSED_PAD src0_sel:BYTE_0 src1_sel:DWORD
	v_or_b32_sdwa v7, v17, v7 dst_sel:WORD_1 dst_unused:UNUSED_PAD src0_sel:BYTE_0 src1_sel:DWORD
	v_or_b32_sdwa v1, v1, v5 dst_sel:DWORD dst_unused:UNUSED_PAD src0_sel:WORD_0 src1_sel:DWORD
	v_mul_lo_u16_e32 v5, v10, v11
	v_or_b32_sdwa v2, v2, v7 dst_sel:DWORD dst_unused:UNUSED_PAD src0_sel:WORD_0 src1_sel:DWORD
	v_mul_lo_u16_e32 v7, v5, v4
	v_mul_lo_u16_sdwa v8, v7, v11 dst_sel:DWORD dst_unused:UNUSED_PAD src0_sel:DWORD src1_sel:WORD_1
	v_mul_lo_u16_sdwa v11, v8, v11 dst_sel:DWORD dst_unused:UNUSED_PAD src0_sel:DWORD src1_sel:BYTE_3
	v_mul_lo_u16_e32 v14, v11, v12
	v_mul_lo_u16_e32 v15, v14, v3
	v_lshlrev_b16_e32 v3, 8, v6
	v_lshlrev_b16_e32 v4, 8, v9
	v_or_b32_sdwa v3, v18, v3 dst_sel:DWORD dst_unused:UNUSED_PAD src0_sel:BYTE_0 src1_sel:DWORD
	v_or_b32_sdwa v4, v19, v4 dst_sel:WORD_1 dst_unused:UNUSED_PAD src0_sel:BYTE_0 src1_sel:DWORD
	v_or_b32_sdwa v3, v3, v4 dst_sel:DWORD dst_unused:UNUSED_PAD src0_sel:WORD_0 src1_sel:DWORD
	v_lshlrev_b16_e32 v4, 8, v21
	v_lshlrev_b16_e32 v6, 8, v10
	v_or_b32_sdwa v4, v20, v4 dst_sel:DWORD dst_unused:UNUSED_PAD src0_sel:BYTE_0 src1_sel:DWORD
	v_or_b32_sdwa v6, v22, v6 dst_sel:WORD_1 dst_unused:UNUSED_PAD src0_sel:BYTE_0 src1_sel:DWORD
	v_or_b32_sdwa v4, v4, v6 dst_sel:DWORD dst_unused:UNUSED_PAD src0_sel:WORD_0 src1_sel:DWORD
	v_lshlrev_b16_e32 v6, 8, v7
	v_or_b32_sdwa v5, v5, v6 dst_sel:DWORD dst_unused:UNUSED_PAD src0_sel:BYTE_0 src1_sel:DWORD
	v_lshlrev_b16_e32 v6, 8, v11
	v_mul_lo_u16_sdwa v16, v15, v12 dst_sel:DWORD dst_unused:UNUSED_PAD src0_sel:DWORD src1_sel:WORD_1
	v_or_b32_sdwa v6, v8, v6 dst_sel:WORD_1 dst_unused:UNUSED_PAD src0_sel:BYTE_0 src1_sel:DWORD
	v_mul_lo_u16_sdwa v12, v16, v12 dst_sel:BYTE_1 dst_unused:UNUSED_PAD src0_sel:DWORD src1_sel:BYTE_3
	v_or_b32_sdwa v5, v5, v6 dst_sel:DWORD dst_unused:UNUSED_PAD src0_sel:WORD_0 src1_sel:DWORD
	v_lshlrev_b16_e32 v6, 8, v15
	v_or_b32_sdwa v6, v14, v6 dst_sel:DWORD dst_unused:UNUSED_PAD src0_sel:BYTE_0 src1_sel:DWORD
	v_or_b32_sdwa v7, v16, v12 dst_sel:WORD_1 dst_unused:UNUSED_PAD src0_sel:BYTE_0 src1_sel:DWORD
	v_or_b32_sdwa v6, v6, v7 dst_sel:DWORD dst_unused:UNUSED_PAD src0_sel:WORD_0 src1_sel:DWORD
	s_and_saveexec_b64 s[2:3], s[0:1]
	s_cbranch_execz .LBB12_90
; %bb.89:
	v_mov_b32_e32 v7, 0
	ds_read_u8 v8, v7 offset:3
	s_waitcnt lgkmcnt(0)
	v_or_b32_e32 v8, 0x200, v8
	global_store_short v7, v8, s[12:13] offset:128
.LBB12_90:
	s_or_b64 exec, exec, s[2:3]
.LBB12_91:
	s_add_u32 s0, s14, s21
	s_addc_u32 s1, s15, 0
	s_mov_b64 s[2:3], -1
	s_and_b64 vcc, exec, s[16:17]
	s_waitcnt vmcnt(0) lgkmcnt(0)
	s_barrier
	s_cbranch_vccz .LBB12_93
; %bb.92:
	ds_write2_b64 v13, v[1:2], v[3:4] offset1:1
	ds_write_b64 v13, v[5:6] offset:16
	s_waitcnt lgkmcnt(0)
	s_barrier
	ds_read_u8 v7, v0
	ds_read_u8 v8, v0 offset:256
	ds_read_u8 v9, v0 offset:512
	;; [unrolled: 1-line block ×23, first 2 shown]
	v_mov_b32_e32 v32, s1
	v_add_co_u32_e32 v33, vcc, s0, v0
	v_addc_co_u32_e32 v32, vcc, 0, v32, vcc
	s_waitcnt lgkmcnt(14)
	global_store_byte v0, v7, s[0:1]
	global_store_byte v0, v8, s[0:1] offset:256
	global_store_byte v0, v9, s[0:1] offset:512
	;; [unrolled: 1-line block ×9, first 2 shown]
	s_waitcnt lgkmcnt(13)
	global_store_byte v0, v18, s[0:1] offset:2560
	s_waitcnt lgkmcnt(12)
	global_store_byte v0, v19, s[0:1] offset:2816
	;; [unrolled: 2-line block ×6, first 2 shown]
	v_add_co_u32_e32 v7, vcc, 0x1000, v33
	v_addc_co_u32_e32 v8, vcc, 0, v32, vcc
	s_waitcnt lgkmcnt(7)
	global_store_byte v[7:8], v24, off
	s_waitcnt lgkmcnt(6)
	global_store_byte v[7:8], v25, off offset:256
	s_waitcnt lgkmcnt(5)
	global_store_byte v[7:8], v26, off offset:512
	;; [unrolled: 2-line block ×7, first 2 shown]
	s_mov_b64 s[2:3], 0
.LBB12_93:
	s_andn2_b64 vcc, exec, s[2:3]
	s_cbranch_vccnz .LBB12_150
; %bb.94:
	ds_write2_b64 v13, v[1:2], v[3:4] offset1:1
	ds_write_b64 v13, v[5:6] offset:16
	s_waitcnt vmcnt(0) lgkmcnt(0)
	s_barrier
	ds_read_u8 v5, v0
	ds_read_u8 v4, v0 offset:256
	ds_read_u8 v7, v0 offset:512
	;; [unrolled: 1-line block ×23, first 2 shown]
	v_mov_b32_e32 v3, s1
	v_add_co_u32_e32 v2, vcc, s0, v0
	v_addc_co_u32_e32 v3, vcc, 0, v3, vcc
	v_mov_b32_e32 v1, 0
	v_cmp_gt_u32_e32 vcc, s7, v0
	s_and_saveexec_b64 s[0:1], vcc
	s_cbranch_execz .LBB12_96
; %bb.95:
	s_waitcnt lgkmcnt(14)
	global_store_byte v[2:3], v5, off
.LBB12_96:
	s_or_b64 exec, exec, s[0:1]
	v_or_b32_e32 v29, 0x100, v0
	v_cmp_gt_u32_e32 vcc, s7, v29
	s_and_saveexec_b64 s[0:1], vcc
	s_cbranch_execz .LBB12_98
; %bb.97:
	s_waitcnt lgkmcnt(14)
	global_store_byte v[2:3], v4, off offset:256
.LBB12_98:
	s_or_b64 exec, exec, s[0:1]
	v_or_b32_e32 v29, 0x200, v0
	v_cmp_gt_u32_e32 vcc, s7, v29
	s_and_saveexec_b64 s[0:1], vcc
	s_cbranch_execz .LBB12_100
; %bb.99:
	s_waitcnt lgkmcnt(14)
	global_store_byte v[2:3], v7, off offset:512
.LBB12_100:
	;; [unrolled: 9-line block ×15, first 2 shown]
	s_or_b64 exec, exec, s[0:1]
	v_or_b32_e32 v29, 0x1000, v0
	v_cmp_gt_u32_e32 vcc, s7, v29
	s_and_saveexec_b64 s[0:1], vcc
	s_cbranch_execz .LBB12_128
; %bb.127:
	v_add_co_u32_e32 v29, vcc, 0x1000, v2
	v_addc_co_u32_e32 v30, vcc, 0, v3, vcc
	s_waitcnt lgkmcnt(7)
	global_store_byte v[29:30], v24, off
.LBB12_128:
	s_or_b64 exec, exec, s[0:1]
	v_or_b32_e32 v29, 0x1100, v0
	v_cmp_gt_u32_e32 vcc, s7, v29
	s_and_saveexec_b64 s[0:1], vcc
	s_cbranch_execz .LBB12_130
; %bb.129:
	v_add_co_u32_e32 v29, vcc, 0x1000, v2
	v_addc_co_u32_e32 v30, vcc, 0, v3, vcc
	s_waitcnt lgkmcnt(6)
	global_store_byte v[29:30], v26, off offset:256
.LBB12_130:
	s_or_b64 exec, exec, s[0:1]
	v_or_b32_e32 v29, 0x1200, v0
	v_cmp_gt_u32_e32 vcc, s7, v29
	s_and_saveexec_b64 s[0:1], vcc
	s_cbranch_execz .LBB12_132
; %bb.131:
	v_add_co_u32_e32 v29, vcc, 0x1000, v2
	v_addc_co_u32_e32 v30, vcc, 0, v3, vcc
	s_waitcnt lgkmcnt(5)
	global_store_byte v[29:30], v27, off offset:512
.LBB12_132:
	;; [unrolled: 11-line block ×7, first 2 shown]
	s_or_b64 exec, exec, s[0:1]
	s_load_dword s0, s[4:5], 0x40
	s_waitcnt lgkmcnt(0)
	s_bfe_u32 s0, s0, 0x10008
	s_cmp_eq_u32 s0, 0
	s_cbranch_scc1 .LBB12_150
; %bb.143:
	s_add_u32 s0, s7, -1
	s_addc_u32 s1, s20, -1
	s_mul_i32 s5, s1, 0xaaaaaaab
	s_mul_hi_u32 s6, s0, 0xaaaaaaab
	s_mul_hi_u32 s4, s1, 0xaaaaaaab
	s_add_u32 s5, s5, s6
	s_mul_i32 s3, s0, 0xaaaaaaaa
	s_addc_u32 s4, s4, 0
	s_mul_hi_u32 s2, s0, 0xaaaaaaaa
	s_add_u32 s3, s3, s5
	s_addc_u32 s2, s2, 0
	s_add_u32 s2, s4, s2
	s_addc_u32 s3, 0, 0
	s_mul_i32 s5, s1, 0xaaaaaaaa
	s_mul_hi_u32 s4, s1, 0xaaaaaaaa
	s_add_u32 s2, s5, s2
	s_addc_u32 s3, s4, s3
	s_lshr_b64 s[2:3], s[2:3], 4
	v_cmp_eq_u64_e32 vcc, s[2:3], v[0:1]
	s_and_saveexec_b64 s[2:3], vcc
	s_cbranch_execz .LBB12_150
; %bb.144:
	v_mul_hi_u32_u24_e32 v1, 24, v0
	v_mov_b32_e32 v2, s1
	v_sub_co_u32_e32 v0, vcc, s0, v13
	v_subb_co_u32_e32 v1, vcc, v2, v1, vcc
	v_cmp_lt_i64_e32 vcc, 11, v[0:1]
	s_mov_b64 s[0:1], 0
	s_mov_b64 s[8:9], 0
	;; [unrolled: 1-line block ×4, first 2 shown]
	s_and_saveexec_b64 s[2:3], vcc
	s_xor_b64 s[2:3], exec, s[2:3]
	s_cbranch_execnz .LBB12_151
; %bb.145:
	s_andn2_saveexec_b64 s[2:3], s[2:3]
	s_cbranch_execnz .LBB12_196
.LBB12_146:
	s_or_b64 exec, exec, s[2:3]
	s_and_saveexec_b64 s[2:3], s[8:9]
	s_cbranch_execnz .LBB12_213
.LBB12_147:
	s_or_b64 exec, exec, s[2:3]
	s_and_saveexec_b64 s[2:3], s[6:7]
	s_cbranch_execnz .LBB12_214
.LBB12_148:
	s_or_b64 exec, exec, s[2:3]
	s_and_saveexec_b64 s[2:3], s[4:5]
	s_xor_b64 s[2:3], exec, s[2:3]
	s_cbranch_execnz .LBB12_215
.LBB12_149:
	s_or_b64 exec, exec, s[2:3]
	s_and_b64 exec, exec, s[0:1]
	s_cbranch_execnz .LBB12_216
.LBB12_150:
	s_endpgm
.LBB12_151:
	v_cmp_lt_i64_e32 vcc, 17, v[0:1]
	s_and_saveexec_b64 s[12:13], vcc
	s_xor_b64 s[12:13], exec, s[12:13]
	s_cbranch_execz .LBB12_173
; %bb.152:
	v_cmp_lt_i64_e32 vcc, 20, v[0:1]
	s_and_saveexec_b64 s[14:15], vcc
	s_xor_b64 s[14:15], exec, s[14:15]
	s_cbranch_execz .LBB12_162
; %bb.153:
	v_cmp_lt_i64_e32 vcc, 21, v[0:1]
	s_mov_b64 s[16:17], 0
	s_and_saveexec_b64 s[4:5], vcc
	s_xor_b64 s[4:5], exec, s[4:5]
	s_cbranch_execz .LBB12_159
; %bb.154:
	v_cmp_lt_i64_e32 vcc, 22, v[0:1]
	s_and_saveexec_b64 s[16:17], vcc
	s_xor_b64 s[16:17], exec, s[16:17]
	s_cbranch_execz .LBB12_156
; %bb.155:
	v_mov_b32_e32 v2, 0
	global_store_byte v2, v28, s[10:11]
.LBB12_156:
	s_or_saveexec_b64 s[16:17], s[16:17]
	s_mov_b64 s[18:19], 0
	s_xor_b64 exec, exec, s[16:17]
; %bb.157:
	s_mov_b64 s[18:19], exec
; %bb.158:
	s_or_b64 exec, exec, s[16:17]
	s_and_b64 s[16:17], s[18:19], exec
.LBB12_159:
	s_andn2_saveexec_b64 s[4:5], s[4:5]
; %bb.160:
	s_mov_b64 s[6:7], exec
; %bb.161:
	s_or_b64 exec, exec, s[4:5]
	s_and_b64 s[4:5], s[16:17], exec
	s_and_b64 s[6:7], s[6:7], exec
                                        ; implicit-def: $vgpr27
                                        ; implicit-def: $vgpr25
.LBB12_162:
	s_andn2_saveexec_b64 s[14:15], s[14:15]
	s_cbranch_execz .LBB12_172
; %bb.163:
	v_cmp_lt_i64_e32 vcc, 18, v[0:1]
	s_mov_b64 s[16:17], 0
	s_and_saveexec_b64 s[8:9], vcc
	s_xor_b64 s[8:9], exec, s[8:9]
	s_cbranch_execz .LBB12_169
; %bb.164:
	v_cmp_lt_i64_e32 vcc, 19, v[0:1]
	s_and_saveexec_b64 s[18:19], vcc
	s_xor_b64 s[18:19], exec, s[18:19]
; %bb.165:
	s_mov_b64 s[16:17], exec
                                        ; implicit-def: $vgpr25
; %bb.166:
	s_andn2_saveexec_b64 s[18:19], s[18:19]
	s_cbranch_execz .LBB12_168
; %bb.167:
	v_mov_b32_e32 v2, 0
	global_store_byte v2, v25, s[10:11]
.LBB12_168:
	s_or_b64 exec, exec, s[18:19]
	s_and_b64 s[16:17], s[16:17], exec
                                        ; implicit-def: $vgpr27
.LBB12_169:
	s_andn2_saveexec_b64 s[8:9], s[8:9]
	s_cbranch_execz .LBB12_171
; %bb.170:
	v_mov_b32_e32 v2, 0
	global_store_byte v2, v27, s[10:11]
.LBB12_171:
	s_or_b64 exec, exec, s[8:9]
	s_and_b64 s[8:9], s[16:17], exec
.LBB12_172:
	s_or_b64 exec, exec, s[14:15]
	s_and_b64 s[4:5], s[4:5], exec
	s_and_b64 s[6:7], s[6:7], exec
	;; [unrolled: 1-line block ×3, first 2 shown]
                                        ; implicit-def: $vgpr18
                                        ; implicit-def: $vgpr16
                                        ; implicit-def: $vgpr17
                                        ; implicit-def: $vgpr21
                                        ; implicit-def: $vgpr24
                                        ; implicit-def: $vgpr26
.LBB12_173:
	s_andn2_saveexec_b64 s[12:13], s[12:13]
	s_cbranch_execz .LBB12_195
; %bb.174:
	v_cmp_lt_i64_e32 vcc, 14, v[0:1]
	s_mov_b64 s[14:15], s[4:5]
	s_and_saveexec_b64 s[16:17], vcc
	s_xor_b64 s[16:17], exec, s[16:17]
	s_cbranch_execz .LBB12_184
; %bb.175:
	v_cmp_lt_i64_e32 vcc, 15, v[0:1]
	s_and_saveexec_b64 s[14:15], vcc
	s_xor_b64 s[14:15], exec, s[14:15]
	s_cbranch_execz .LBB12_181
; %bb.176:
	v_cmp_lt_i64_e32 vcc, 16, v[0:1]
	s_and_saveexec_b64 s[18:19], vcc
	s_xor_b64 s[18:19], exec, s[18:19]
	s_cbranch_execz .LBB12_178
; %bb.177:
	v_mov_b32_e32 v2, 0
	global_store_byte v2, v26, s[10:11]
                                        ; implicit-def: $vgpr24
.LBB12_178:
	s_andn2_saveexec_b64 s[18:19], s[18:19]
	s_cbranch_execz .LBB12_180
; %bb.179:
	v_mov_b32_e32 v2, 0
	global_store_byte v2, v24, s[10:11]
.LBB12_180:
	s_or_b64 exec, exec, s[18:19]
.LBB12_181:
	s_or_saveexec_b64 s[14:15], s[14:15]
	s_mov_b64 s[18:19], s[4:5]
	s_xor_b64 exec, exec, s[14:15]
; %bb.182:
	s_or_b64 s[18:19], s[4:5], exec
; %bb.183:
	s_or_b64 exec, exec, s[14:15]
	s_andn2_b64 s[14:15], s[4:5], exec
	s_and_b64 s[18:19], s[18:19], exec
	s_or_b64 s[14:15], s[14:15], s[18:19]
                                        ; implicit-def: $vgpr17
                                        ; implicit-def: $vgpr21
                                        ; implicit-def: $vgpr16
.LBB12_184:
	s_or_saveexec_b64 s[16:17], s[16:17]
	s_mov_b64 s[18:19], s[6:7]
                                        ; implicit-def: $vgpr11
	s_xor_b64 exec, exec, s[16:17]
	s_cbranch_execz .LBB12_194
; %bb.185:
	v_cmp_lt_i64_e32 vcc, 12, v[0:1]
	s_mov_b64 s[20:21], s[6:7]
	s_mov_b64 s[22:23], s[14:15]
	s_and_saveexec_b64 s[18:19], vcc
	s_xor_b64 s[18:19], exec, s[18:19]
	s_cbranch_execz .LBB12_191
; %bb.186:
	v_cmp_lt_i64_e32 vcc, 13, v[0:1]
	s_mov_b64 s[20:21], s[14:15]
	s_and_saveexec_b64 s[22:23], vcc
	s_xor_b64 s[22:23], exec, s[22:23]
; %bb.187:
	s_or_b64 s[20:21], s[14:15], exec
; %bb.188:
	s_or_saveexec_b64 s[22:23], s[22:23]
	s_mov_b64 s[24:25], s[6:7]
	s_xor_b64 exec, exec, s[22:23]
; %bb.189:
	s_or_b64 s[24:25], s[6:7], exec
; %bb.190:
	s_or_b64 exec, exec, s[22:23]
	s_andn2_b64 s[22:23], s[14:15], exec
	s_and_b64 s[20:21], s[20:21], exec
	s_or_b64 s[22:23], s[22:23], s[20:21]
	s_andn2_b64 s[20:21], s[6:7], exec
	s_and_b64 s[24:25], s[24:25], exec
	s_or_b64 s[20:21], s[20:21], s[24:25]
                                        ; implicit-def: $vgpr21
.LBB12_191:
	s_andn2_saveexec_b64 s[18:19], s[18:19]
; %bb.192:
	s_or_b64 s[20:21], s[20:21], exec
	v_mov_b32_e32 v17, v21
; %bb.193:
	s_or_b64 exec, exec, s[18:19]
	s_andn2_b64 s[14:15], s[14:15], exec
	s_and_b64 s[18:19], s[22:23], exec
	s_or_b64 s[14:15], s[14:15], s[18:19]
	s_andn2_b64 s[18:19], s[6:7], exec
	s_and_b64 s[20:21], s[20:21], exec
	s_or_b64 s[18:19], s[18:19], s[20:21]
	v_mov_b32_e32 v18, v16
	v_mov_b32_e32 v11, v17
.LBB12_194:
	s_or_b64 exec, exec, s[16:17]
	s_andn2_b64 s[4:5], s[4:5], exec
	s_and_b64 s[14:15], s[14:15], exec
	s_or_b64 s[4:5], s[4:5], s[14:15]
	s_andn2_b64 s[6:7], s[6:7], exec
	s_and_b64 s[14:15], s[18:19], exec
	s_or_b64 s[6:7], s[6:7], s[14:15]
	v_mov_b32_e32 v12, v18
.LBB12_195:
	s_or_b64 exec, exec, s[12:13]
	s_and_b64 s[4:5], s[4:5], exec
	s_and_b64 s[6:7], s[6:7], exec
	;; [unrolled: 1-line block ×3, first 2 shown]
                                        ; implicit-def: $vgpr19
                                        ; implicit-def: $vgpr23
                                        ; implicit-def: $vgpr20
                                        ; implicit-def: $vgpr22
                                        ; implicit-def: $vgpr14
                                        ; implicit-def: $vgpr15
	s_andn2_saveexec_b64 s[2:3], s[2:3]
	s_cbranch_execz .LBB12_146
.LBB12_196:
	v_cmp_lt_i64_e32 vcc, 5, v[0:1]
	s_mov_b64 s[14:15], -1
	s_mov_b64 s[12:13], s[8:9]
	s_mov_b64 s[16:17], s[6:7]
	;; [unrolled: 1-line block ×3, first 2 shown]
                                        ; implicit-def: $vgpr10
	s_and_saveexec_b64 s[0:1], vcc
	s_cbranch_execz .LBB12_212
; %bb.197:
	v_cmp_lt_i64_e32 vcc, 8, v[0:1]
	s_mov_b64 s[12:13], s[8:9]
                                        ; implicit-def: $vgpr10
	s_and_saveexec_b64 s[14:15], vcc
	s_xor_b64 s[14:15], exec, s[14:15]
	s_cbranch_execz .LBB12_207
; %bb.198:
	v_cmp_lt_i64_e32 vcc, 9, v[0:1]
	s_and_saveexec_b64 s[12:13], vcc
	s_xor_b64 s[12:13], exec, s[12:13]
	s_cbranch_execz .LBB12_204
; %bb.199:
	v_cmp_lt_i64_e32 vcc, 10, v[0:1]
	s_and_saveexec_b64 s[16:17], vcc
	s_xor_b64 s[16:17], exec, s[16:17]
; %bb.200:
                                        ; implicit-def: $vgpr22
; %bb.201:
	s_andn2_saveexec_b64 s[16:17], s[16:17]
; %bb.202:
	v_mov_b32_e32 v20, v22
; %bb.203:
	s_or_b64 exec, exec, s[16:17]
                                        ; implicit-def: $vgpr23
.LBB12_204:
	s_andn2_saveexec_b64 s[12:13], s[12:13]
; %bb.205:
	v_mov_b32_e32 v20, v23
; %bb.206:
	s_or_b64 exec, exec, s[12:13]
	s_or_b64 s[12:13], s[8:9], exec
	v_mov_b32_e32 v10, v20
                                        ; implicit-def: $vgpr19
.LBB12_207:
	s_or_saveexec_b64 s[14:15], s[14:15]
	s_mov_b64 s[16:17], s[6:7]
	s_mov_b64 s[20:21], s[4:5]
	s_xor_b64 exec, exec, s[14:15]
	s_cbranch_execz .LBB12_211
; %bb.208:
	v_cmp_lt_i64_e32 vcc, 6, v[0:1]
	s_mov_b64 s[20:21], -1
	s_mov_b64 s[18:19], s[12:13]
	s_mov_b64 s[16:17], s[6:7]
	s_and_saveexec_b64 s[22:23], vcc
; %bb.209:
	v_cmp_lt_i64_e32 vcc, 7, v[0:1]
	s_andn2_b64 s[18:19], s[12:13], exec
	s_and_b64 s[24:25], vcc, exec
	s_xor_b64 s[20:21], exec, -1
	s_or_b64 s[16:17], s[6:7], exec
	s_or_b64 s[18:19], s[18:19], s[24:25]
; %bb.210:
	s_or_b64 exec, exec, s[22:23]
	s_andn2_b64 s[22:23], s[4:5], exec
	s_and_b64 s[20:21], s[20:21], exec
	s_or_b64 s[20:21], s[22:23], s[20:21]
	s_andn2_b64 s[22:23], s[6:7], exec
	s_and_b64 s[16:17], s[16:17], exec
	s_andn2_b64 s[12:13], s[12:13], exec
	s_and_b64 s[18:19], s[18:19], exec
	s_or_b64 s[16:17], s[22:23], s[16:17]
	s_or_b64 s[12:13], s[12:13], s[18:19]
	v_mov_b32_e32 v10, v19
.LBB12_211:
	s_or_b64 exec, exec, s[14:15]
	s_andn2_b64 s[18:19], s[4:5], exec
	s_and_b64 s[20:21], s[20:21], exec
	s_or_b64 s[18:19], s[18:19], s[20:21]
	s_andn2_b64 s[20:21], s[6:7], exec
	s_and_b64 s[16:17], s[16:17], exec
	s_or_b64 s[16:17], s[20:21], s[16:17]
	s_andn2_b64 s[20:21], s[8:9], exec
	s_and_b64 s[12:13], s[12:13], exec
	s_xor_b64 s[14:15], exec, -1
	s_or_b64 s[12:13], s[20:21], s[12:13]
.LBB12_212:
	s_or_b64 exec, exec, s[0:1]
	s_and_b64 s[0:1], s[14:15], exec
	s_andn2_b64 s[4:5], s[4:5], exec
	s_and_b64 s[14:15], s[18:19], exec
	s_or_b64 s[4:5], s[4:5], s[14:15]
	s_andn2_b64 s[6:7], s[6:7], exec
	s_and_b64 s[14:15], s[16:17], exec
	s_andn2_b64 s[8:9], s[8:9], exec
	s_and_b64 s[12:13], s[12:13], exec
	s_or_b64 s[6:7], s[6:7], s[14:15]
	s_or_b64 s[8:9], s[8:9], s[12:13]
	v_mov_b32_e32 v12, v14
	v_mov_b32_e32 v11, v15
	s_or_b64 exec, exec, s[2:3]
	s_and_saveexec_b64 s[2:3], s[8:9]
	s_cbranch_execz .LBB12_147
.LBB12_213:
	v_mov_b32_e32 v2, 0
	s_andn2_b64 s[6:7], s[6:7], exec
	global_store_byte v2, v10, s[10:11]
	s_or_b64 exec, exec, s[2:3]
	s_and_saveexec_b64 s[2:3], s[6:7]
	s_cbranch_execz .LBB12_148
.LBB12_214:
	v_mov_b32_e32 v2, 0
	global_store_byte v2, v11, s[10:11]
	s_or_b64 exec, exec, s[2:3]
	s_and_saveexec_b64 s[2:3], s[4:5]
	s_xor_b64 s[2:3], exec, s[2:3]
	s_cbranch_execz .LBB12_149
.LBB12_215:
	v_mov_b32_e32 v2, 0
	global_store_byte v2, v12, s[10:11]
	s_or_b64 exec, exec, s[2:3]
	s_and_b64 exec, exec, s[0:1]
	s_cbranch_execz .LBB12_150
.LBB12_216:
	v_cmp_lt_i64_e32 vcc, 2, v[0:1]
	s_and_saveexec_b64 s[0:1], vcc
	s_xor_b64 s[0:1], exec, s[0:1]
	s_cbranch_execz .LBB12_226
; %bb.217:
	v_cmp_lt_i64_e32 vcc, 3, v[0:1]
	s_and_saveexec_b64 s[2:3], vcc
	s_xor_b64 s[2:3], exec, s[2:3]
	s_cbranch_execz .LBB12_223
; %bb.218:
	;; [unrolled: 5-line block ×3, first 2 shown]
	v_mov_b32_e32 v0, 0
	global_store_byte v0, v9, s[10:11]
                                        ; implicit-def: $vgpr6
.LBB12_220:
	s_andn2_saveexec_b64 s[4:5], s[4:5]
	s_cbranch_execz .LBB12_222
; %bb.221:
	v_mov_b32_e32 v0, 0
	global_store_byte v0, v6, s[10:11]
.LBB12_222:
	s_or_b64 exec, exec, s[4:5]
                                        ; implicit-def: $vgpr8
.LBB12_223:
	s_andn2_saveexec_b64 s[2:3], s[2:3]
	s_cbranch_execz .LBB12_225
; %bb.224:
	v_mov_b32_e32 v0, 0
	global_store_byte v0, v8, s[10:11]
.LBB12_225:
	s_or_b64 exec, exec, s[2:3]
                                        ; implicit-def: $vgpr0_vgpr1
                                        ; implicit-def: $vgpr7
                                        ; implicit-def: $vgpr4
                                        ; implicit-def: $vgpr5
.LBB12_226:
	s_andn2_saveexec_b64 s[0:1], s[0:1]
	s_cbranch_execz .LBB12_150
; %bb.227:
	v_cmp_lt_i64_e32 vcc, 1, v[0:1]
	s_and_saveexec_b64 s[0:1], vcc
	s_xor_b64 s[0:1], exec, s[0:1]
	s_cbranch_execz .LBB12_229
; %bb.228:
	v_mov_b32_e32 v0, 0
	global_store_byte v0, v7, s[10:11]
                                        ; implicit-def: $vgpr4
                                        ; implicit-def: $vgpr0_vgpr1
                                        ; implicit-def: $vgpr5
.LBB12_229:
	s_andn2_saveexec_b64 s[0:1], s[0:1]
	s_cbranch_execz .LBB12_150
; %bb.230:
	v_cmp_ne_u64_e32 vcc, 1, v[0:1]
	s_and_saveexec_b64 s[0:1], vcc
	s_xor_b64 s[0:1], exec, s[0:1]
	s_cbranch_execz .LBB12_232
; %bb.231:
	v_mov_b32_e32 v0, 0
	global_store_byte v0, v5, s[10:11]
                                        ; implicit-def: $vgpr4
.LBB12_232:
	s_andn2_saveexec_b64 s[0:1], s[0:1]
	s_cbranch_execz .LBB12_150
; %bb.233:
	v_mov_b32_e32 v0, 0
	global_store_byte v0, v4, s[10:11]
	s_endpgm
	.section	.rodata,"a",@progbits
	.p2align	6, 0x0
	.amdhsa_kernel _ZN7rocprim17ROCPRIM_304000_NS6detail20lookback_scan_kernelILNS1_25lookback_scan_determinismE0ELb0ENS1_19wrapped_scan_configINS0_14default_configEaEEPKaPaSt10multipliesIaEaaNS1_19lookback_scan_stateIaLb0ELb1EEEEEvT2_T3_mT5_T4_T7_jPT6_SK_bb
		.amdhsa_group_segment_fixed_size 6144
		.amdhsa_private_segment_fixed_size 0
		.amdhsa_kernarg_size 68
		.amdhsa_user_sgpr_count 6
		.amdhsa_user_sgpr_private_segment_buffer 1
		.amdhsa_user_sgpr_dispatch_ptr 0
		.amdhsa_user_sgpr_queue_ptr 0
		.amdhsa_user_sgpr_kernarg_segment_ptr 1
		.amdhsa_user_sgpr_dispatch_id 0
		.amdhsa_user_sgpr_flat_scratch_init 0
		.amdhsa_user_sgpr_private_segment_size 0
		.amdhsa_uses_dynamic_stack 0
		.amdhsa_system_sgpr_private_segment_wavefront_offset 0
		.amdhsa_system_sgpr_workgroup_id_x 1
		.amdhsa_system_sgpr_workgroup_id_y 0
		.amdhsa_system_sgpr_workgroup_id_z 0
		.amdhsa_system_sgpr_workgroup_info 0
		.amdhsa_system_vgpr_workitem_id 0
		.amdhsa_next_free_vgpr 45
		.amdhsa_next_free_sgpr 26
		.amdhsa_reserve_vcc 1
		.amdhsa_reserve_flat_scratch 0
		.amdhsa_float_round_mode_32 0
		.amdhsa_float_round_mode_16_64 0
		.amdhsa_float_denorm_mode_32 3
		.amdhsa_float_denorm_mode_16_64 3
		.amdhsa_dx10_clamp 1
		.amdhsa_ieee_mode 1
		.amdhsa_fp16_overflow 0
		.amdhsa_exception_fp_ieee_invalid_op 0
		.amdhsa_exception_fp_denorm_src 0
		.amdhsa_exception_fp_ieee_div_zero 0
		.amdhsa_exception_fp_ieee_overflow 0
		.amdhsa_exception_fp_ieee_underflow 0
		.amdhsa_exception_fp_ieee_inexact 0
		.amdhsa_exception_int_div_zero 0
	.end_amdhsa_kernel
	.section	.text._ZN7rocprim17ROCPRIM_304000_NS6detail20lookback_scan_kernelILNS1_25lookback_scan_determinismE0ELb0ENS1_19wrapped_scan_configINS0_14default_configEaEEPKaPaSt10multipliesIaEaaNS1_19lookback_scan_stateIaLb0ELb1EEEEEvT2_T3_mT5_T4_T7_jPT6_SK_bb,"axG",@progbits,_ZN7rocprim17ROCPRIM_304000_NS6detail20lookback_scan_kernelILNS1_25lookback_scan_determinismE0ELb0ENS1_19wrapped_scan_configINS0_14default_configEaEEPKaPaSt10multipliesIaEaaNS1_19lookback_scan_stateIaLb0ELb1EEEEEvT2_T3_mT5_T4_T7_jPT6_SK_bb,comdat
.Lfunc_end12:
	.size	_ZN7rocprim17ROCPRIM_304000_NS6detail20lookback_scan_kernelILNS1_25lookback_scan_determinismE0ELb0ENS1_19wrapped_scan_configINS0_14default_configEaEEPKaPaSt10multipliesIaEaaNS1_19lookback_scan_stateIaLb0ELb1EEEEEvT2_T3_mT5_T4_T7_jPT6_SK_bb, .Lfunc_end12-_ZN7rocprim17ROCPRIM_304000_NS6detail20lookback_scan_kernelILNS1_25lookback_scan_determinismE0ELb0ENS1_19wrapped_scan_configINS0_14default_configEaEEPKaPaSt10multipliesIaEaaNS1_19lookback_scan_stateIaLb0ELb1EEEEEvT2_T3_mT5_T4_T7_jPT6_SK_bb
                                        ; -- End function
	.set _ZN7rocprim17ROCPRIM_304000_NS6detail20lookback_scan_kernelILNS1_25lookback_scan_determinismE0ELb0ENS1_19wrapped_scan_configINS0_14default_configEaEEPKaPaSt10multipliesIaEaaNS1_19lookback_scan_stateIaLb0ELb1EEEEEvT2_T3_mT5_T4_T7_jPT6_SK_bb.num_vgpr, 45
	.set _ZN7rocprim17ROCPRIM_304000_NS6detail20lookback_scan_kernelILNS1_25lookback_scan_determinismE0ELb0ENS1_19wrapped_scan_configINS0_14default_configEaEEPKaPaSt10multipliesIaEaaNS1_19lookback_scan_stateIaLb0ELb1EEEEEvT2_T3_mT5_T4_T7_jPT6_SK_bb.num_agpr, 0
	.set _ZN7rocprim17ROCPRIM_304000_NS6detail20lookback_scan_kernelILNS1_25lookback_scan_determinismE0ELb0ENS1_19wrapped_scan_configINS0_14default_configEaEEPKaPaSt10multipliesIaEaaNS1_19lookback_scan_stateIaLb0ELb1EEEEEvT2_T3_mT5_T4_T7_jPT6_SK_bb.numbered_sgpr, 26
	.set _ZN7rocprim17ROCPRIM_304000_NS6detail20lookback_scan_kernelILNS1_25lookback_scan_determinismE0ELb0ENS1_19wrapped_scan_configINS0_14default_configEaEEPKaPaSt10multipliesIaEaaNS1_19lookback_scan_stateIaLb0ELb1EEEEEvT2_T3_mT5_T4_T7_jPT6_SK_bb.num_named_barrier, 0
	.set _ZN7rocprim17ROCPRIM_304000_NS6detail20lookback_scan_kernelILNS1_25lookback_scan_determinismE0ELb0ENS1_19wrapped_scan_configINS0_14default_configEaEEPKaPaSt10multipliesIaEaaNS1_19lookback_scan_stateIaLb0ELb1EEEEEvT2_T3_mT5_T4_T7_jPT6_SK_bb.private_seg_size, 0
	.set _ZN7rocprim17ROCPRIM_304000_NS6detail20lookback_scan_kernelILNS1_25lookback_scan_determinismE0ELb0ENS1_19wrapped_scan_configINS0_14default_configEaEEPKaPaSt10multipliesIaEaaNS1_19lookback_scan_stateIaLb0ELb1EEEEEvT2_T3_mT5_T4_T7_jPT6_SK_bb.uses_vcc, 1
	.set _ZN7rocprim17ROCPRIM_304000_NS6detail20lookback_scan_kernelILNS1_25lookback_scan_determinismE0ELb0ENS1_19wrapped_scan_configINS0_14default_configEaEEPKaPaSt10multipliesIaEaaNS1_19lookback_scan_stateIaLb0ELb1EEEEEvT2_T3_mT5_T4_T7_jPT6_SK_bb.uses_flat_scratch, 0
	.set _ZN7rocprim17ROCPRIM_304000_NS6detail20lookback_scan_kernelILNS1_25lookback_scan_determinismE0ELb0ENS1_19wrapped_scan_configINS0_14default_configEaEEPKaPaSt10multipliesIaEaaNS1_19lookback_scan_stateIaLb0ELb1EEEEEvT2_T3_mT5_T4_T7_jPT6_SK_bb.has_dyn_sized_stack, 0
	.set _ZN7rocprim17ROCPRIM_304000_NS6detail20lookback_scan_kernelILNS1_25lookback_scan_determinismE0ELb0ENS1_19wrapped_scan_configINS0_14default_configEaEEPKaPaSt10multipliesIaEaaNS1_19lookback_scan_stateIaLb0ELb1EEEEEvT2_T3_mT5_T4_T7_jPT6_SK_bb.has_recursion, 0
	.set _ZN7rocprim17ROCPRIM_304000_NS6detail20lookback_scan_kernelILNS1_25lookback_scan_determinismE0ELb0ENS1_19wrapped_scan_configINS0_14default_configEaEEPKaPaSt10multipliesIaEaaNS1_19lookback_scan_stateIaLb0ELb1EEEEEvT2_T3_mT5_T4_T7_jPT6_SK_bb.has_indirect_call, 0
	.section	.AMDGPU.csdata,"",@progbits
; Kernel info:
; codeLenInByte = 8780
; TotalNumSgprs: 30
; NumVgprs: 45
; ScratchSize: 0
; MemoryBound: 0
; FloatMode: 240
; IeeeMode: 1
; LDSByteSize: 6144 bytes/workgroup (compile time only)
; SGPRBlocks: 3
; VGPRBlocks: 11
; NumSGPRsForWavesPerEU: 30
; NumVGPRsForWavesPerEU: 45
; Occupancy: 5
; WaveLimiterHint : 1
; COMPUTE_PGM_RSRC2:SCRATCH_EN: 0
; COMPUTE_PGM_RSRC2:USER_SGPR: 6
; COMPUTE_PGM_RSRC2:TRAP_HANDLER: 0
; COMPUTE_PGM_RSRC2:TGID_X_EN: 1
; COMPUTE_PGM_RSRC2:TGID_Y_EN: 0
; COMPUTE_PGM_RSRC2:TGID_Z_EN: 0
; COMPUTE_PGM_RSRC2:TIDIG_COMP_CNT: 0
	.section	.text._ZN7rocprim17ROCPRIM_304000_NS6detail16transform_kernelINS1_24wrapped_transform_configINS0_14default_configEaEEaPaS6_NS0_8identityIaEEEEvT1_mT2_T3_,"axG",@progbits,_ZN7rocprim17ROCPRIM_304000_NS6detail16transform_kernelINS1_24wrapped_transform_configINS0_14default_configEaEEaPaS6_NS0_8identityIaEEEEvT1_mT2_T3_,comdat
	.protected	_ZN7rocprim17ROCPRIM_304000_NS6detail16transform_kernelINS1_24wrapped_transform_configINS0_14default_configEaEEaPaS6_NS0_8identityIaEEEEvT1_mT2_T3_ ; -- Begin function _ZN7rocprim17ROCPRIM_304000_NS6detail16transform_kernelINS1_24wrapped_transform_configINS0_14default_configEaEEaPaS6_NS0_8identityIaEEEEvT1_mT2_T3_
	.globl	_ZN7rocprim17ROCPRIM_304000_NS6detail16transform_kernelINS1_24wrapped_transform_configINS0_14default_configEaEEaPaS6_NS0_8identityIaEEEEvT1_mT2_T3_
	.p2align	8
	.type	_ZN7rocprim17ROCPRIM_304000_NS6detail16transform_kernelINS1_24wrapped_transform_configINS0_14default_configEaEEaPaS6_NS0_8identityIaEEEEvT1_mT2_T3_,@function
_ZN7rocprim17ROCPRIM_304000_NS6detail16transform_kernelINS1_24wrapped_transform_configINS0_14default_configEaEEaPaS6_NS0_8identityIaEEEEvT1_mT2_T3_: ; @_ZN7rocprim17ROCPRIM_304000_NS6detail16transform_kernelINS1_24wrapped_transform_configINS0_14default_configEaEEaPaS6_NS0_8identityIaEEEEvT1_mT2_T3_
; %bb.0:
	s_load_dword s7, s[4:5], 0x20
	s_load_dwordx4 s[0:3], s[4:5], 0x0
	s_load_dwordx2 s[34:35], s[4:5], 0x10
	s_lshl_b32 s33, s6, 10
	s_waitcnt lgkmcnt(0)
	s_add_i32 s7, s7, -1
	s_add_u32 s0, s0, s33
	s_addc_u32 s1, s1, 0
	v_mov_b32_e32 v2, s1
	v_add_co_u32_e32 v1, vcc, s0, v0
	s_cmp_lg_u32 s6, s7
	v_addc_co_u32_e32 v2, vcc, 0, v2, vcc
	s_cbranch_scc0 .LBB13_2
; %bb.1:
	global_load_ubyte v6, v[1:2], off
	global_load_ubyte v7, v[1:2], off offset:64
	global_load_ubyte v8, v[1:2], off offset:128
	;; [unrolled: 1-line block ×15, first 2 shown]
	s_add_u32 s3, s34, s33
	s_addc_u32 s4, s35, 0
	v_mov_b32_e32 v5, s4
	v_add_co_u32_e32 v4, vcc, s3, v0
	v_addc_co_u32_e32 v5, vcc, 0, v5, vcc
	s_mov_b64 s[36:37], -1
	s_waitcnt vmcnt(15)
	global_store_byte v[4:5], v6, off
	s_waitcnt vmcnt(15)
	global_store_byte v[4:5], v7, off offset:64
	s_waitcnt vmcnt(15)
	global_store_byte v[4:5], v8, off offset:128
	s_waitcnt vmcnt(15)
	global_store_byte v[4:5], v9, off offset:192
	s_waitcnt vmcnt(15)
	global_store_byte v[4:5], v10, off offset:256
	s_waitcnt vmcnt(15)
	global_store_byte v[4:5], v11, off offset:320
	s_waitcnt vmcnt(15)
	global_store_byte v[4:5], v12, off offset:384
	s_waitcnt vmcnt(15)
	global_store_byte v[4:5], v13, off offset:448
	s_waitcnt vmcnt(15)
	global_store_byte v[4:5], v14, off offset:512
	s_waitcnt vmcnt(15)
	global_store_byte v[4:5], v15, off offset:576
	s_waitcnt vmcnt(15)
	global_store_byte v[4:5], v16, off offset:640
	s_waitcnt vmcnt(15)
	global_store_byte v[4:5], v17, off offset:704
	s_waitcnt vmcnt(15)
	global_store_byte v[4:5], v18, off offset:768
	s_waitcnt vmcnt(15)
	global_store_byte v[4:5], v19, off offset:832
	s_waitcnt vmcnt(15)
	global_store_byte v[4:5], v20, off offset:896
	s_cbranch_execz .LBB13_3
	s_branch .LBB13_66
.LBB13_2:
	s_mov_b64 s[36:37], 0
                                        ; implicit-def: $vgpr3
.LBB13_3:
	s_sub_i32 s30, s2, s33
	v_cmp_gt_u32_e32 vcc, s30, v0
	v_mov_b32_e32 v20, 0
	v_mov_b32_e32 v21, 0
	;; [unrolled: 1-line block ×15, first 2 shown]
	s_and_saveexec_b64 s[0:1], vcc
	s_cbranch_execz .LBB13_5
; %bb.4:
	global_load_ubyte v21, v[1:2], off
	v_mov_b32_e32 v22, 0
	v_mov_b32_e32 v16, 0
	;; [unrolled: 1-line block ×13, first 2 shown]
.LBB13_5:
	s_or_b64 exec, exec, s[0:1]
	s_waitcnt vmcnt(15)
	v_or_b32_e32 v3, 64, v0
	v_cmp_gt_u32_e64 s[0:1], s30, v3
	v_mov_b32_e32 v23, v20
	s_and_saveexec_b64 s[2:3], s[0:1]
	s_cbranch_execz .LBB13_7
; %bb.6:
	global_load_ubyte v23, v[1:2], off offset:64
.LBB13_7:
	s_or_b64 exec, exec, s[2:3]
	v_or_b32_e32 v3, 0x80, v0
	v_cmp_gt_u32_e64 s[2:3], s30, v3
	s_and_saveexec_b64 s[4:5], s[2:3]
	s_cbranch_execz .LBB13_9
; %bb.8:
	global_load_ubyte v20, v[1:2], off offset:128
.LBB13_9:
	s_or_b64 exec, exec, s[4:5]
	v_or_b32_e32 v3, 0xc0, v0
	v_cmp_gt_u32_e64 s[4:5], s30, v3
	s_and_saveexec_b64 s[6:7], s[4:5]
	s_cbranch_execz .LBB13_11
; %bb.10:
	global_load_ubyte v22, v[1:2], off offset:192
.LBB13_11:
	s_or_b64 exec, exec, s[6:7]
	v_or_b32_e32 v3, 0x100, v0
	v_cmp_gt_u32_e64 s[6:7], s30, v3
	s_and_saveexec_b64 s[8:9], s[6:7]
	s_cbranch_execz .LBB13_13
; %bb.12:
	global_load_ubyte v16, v[1:2], off offset:256
.LBB13_13:
	s_or_b64 exec, exec, s[8:9]
	v_or_b32_e32 v3, 0x140, v0
	v_cmp_gt_u32_e64 s[8:9], s30, v3
	s_and_saveexec_b64 s[10:11], s[8:9]
	s_cbranch_execz .LBB13_15
; %bb.14:
	global_load_ubyte v17, v[1:2], off offset:320
.LBB13_15:
	s_or_b64 exec, exec, s[10:11]
	v_or_b32_e32 v3, 0x180, v0
	v_cmp_gt_u32_e64 s[10:11], s30, v3
	s_and_saveexec_b64 s[12:13], s[10:11]
	s_cbranch_execz .LBB13_17
; %bb.16:
	global_load_ubyte v18, v[1:2], off offset:384
.LBB13_17:
	s_or_b64 exec, exec, s[12:13]
	v_or_b32_e32 v3, 0x1c0, v0
	v_cmp_gt_u32_e64 s[12:13], s30, v3
	s_and_saveexec_b64 s[14:15], s[12:13]
	s_cbranch_execz .LBB13_19
; %bb.18:
	global_load_ubyte v19, v[1:2], off offset:448
.LBB13_19:
	s_or_b64 exec, exec, s[14:15]
	v_or_b32_e32 v3, 0x200, v0
	v_cmp_gt_u32_e64 s[14:15], s30, v3
	s_and_saveexec_b64 s[16:17], s[14:15]
	s_cbranch_execz .LBB13_21
; %bb.20:
	global_load_ubyte v12, v[1:2], off offset:512
.LBB13_21:
	s_or_b64 exec, exec, s[16:17]
	v_or_b32_e32 v3, 0x240, v0
	v_cmp_gt_u32_e64 s[16:17], s30, v3
	s_and_saveexec_b64 s[18:19], s[16:17]
	s_cbranch_execz .LBB13_23
; %bb.22:
	global_load_ubyte v13, v[1:2], off offset:576
.LBB13_23:
	s_or_b64 exec, exec, s[18:19]
	v_or_b32_e32 v3, 0x280, v0
	v_cmp_gt_u32_e64 s[18:19], s30, v3
	s_and_saveexec_b64 s[20:21], s[18:19]
	s_cbranch_execz .LBB13_25
; %bb.24:
	global_load_ubyte v14, v[1:2], off offset:640
.LBB13_25:
	s_or_b64 exec, exec, s[20:21]
	v_or_b32_e32 v3, 0x2c0, v0
	v_cmp_gt_u32_e64 s[20:21], s30, v3
	s_and_saveexec_b64 s[22:23], s[20:21]
	s_cbranch_execz .LBB13_27
; %bb.26:
	global_load_ubyte v15, v[1:2], off offset:704
.LBB13_27:
	s_or_b64 exec, exec, s[22:23]
	v_or_b32_e32 v3, 0x300, v0
	v_cmp_gt_u32_e64 s[22:23], s30, v3
	s_and_saveexec_b64 s[24:25], s[22:23]
	s_cbranch_execz .LBB13_29
; %bb.28:
	global_load_ubyte v8, v[1:2], off offset:768
.LBB13_29:
	s_or_b64 exec, exec, s[24:25]
	v_or_b32_e32 v3, 0x340, v0
	v_cmp_gt_u32_e64 s[24:25], s30, v3
	s_and_saveexec_b64 s[26:27], s[24:25]
	s_cbranch_execz .LBB13_31
; %bb.30:
	global_load_ubyte v9, v[1:2], off offset:832
.LBB13_31:
	s_or_b64 exec, exec, s[26:27]
	v_or_b32_e32 v3, 0x380, v0
	v_cmp_gt_u32_e64 s[26:27], s30, v3
	s_and_saveexec_b64 s[28:29], s[26:27]
	s_cbranch_execz .LBB13_33
; %bb.32:
	global_load_ubyte v10, v[1:2], off offset:896
.LBB13_33:
	s_or_b64 exec, exec, s[28:29]
	v_or_b32_e32 v3, 0x3c0, v0
	v_cmp_gt_u32_e64 s[28:29], s30, v3
	s_and_saveexec_b64 s[30:31], s[28:29]
	s_cbranch_execz .LBB13_35
; %bb.34:
	global_load_ubyte v11, v[1:2], off offset:960
.LBB13_35:
	s_or_b64 exec, exec, s[30:31]
	s_mov_b32 s30, 0xffff
	s_waitcnt vmcnt(0)
	v_and_b32_sdwa v1, s30, v21 dst_sel:DWORD dst_unused:UNUSED_PAD src0_sel:DWORD src1_sel:BYTE_0
	s_add_u32 s30, s34, s33
	s_addc_u32 s31, s35, 0
	v_cndmask_b32_e32 v5, 0, v1, vcc
	v_mov_b32_e32 v2, s31
	v_add_co_u32_e64 v1, s[30:31], s30, v0
	v_mov_b32_e32 v6, 0
	v_addc_co_u32_e64 v2, s[30:31], 0, v2, s[30:31]
	s_and_saveexec_b64 s[30:31], vcc
	s_cbranch_execz .LBB13_37
; %bb.36:
	global_store_byte v[1:2], v5, off
.LBB13_37:
	s_or_b64 exec, exec, s[30:31]
	s_mov_b32 s30, 0xc0c0004
	v_perm_b32 v3, v21, v23, s30
	v_perm_b32 v4, v20, v22, s30
	v_lshl_or_b32 v24, v4, 16, v3
	v_cndmask_b32_e64 v3, v5, v24, s[0:1]
	s_and_saveexec_b64 s[30:31], s[0:1]
	s_cbranch_execz .LBB13_39
; %bb.38:
	v_lshrrev_b32_e32 v4, 8, v3
	global_store_byte v[1:2], v4, off offset:64
.LBB13_39:
	s_or_b64 exec, exec, s[30:31]
	v_and_b32_e32 v4, 0xffffff00, v3
	v_or_b32_e32 v26, v5, v4
	v_mov_b32_e32 v4, 8
	s_mov_b64 vcc, s[2:3]
	v_lshrrev_b32_sdwa v25, v4, v3 dst_sel:BYTE_1 dst_unused:UNUSED_PAD src0_sel:DWORD src1_sel:DWORD
	v_lshrrev_b64 v[3:4], 24, 0
	v_lshrrev_b64 v[6:7], 24, v[5:6]
	v_cndmask_b32_sdwa v4, v26, v24, vcc dst_sel:DWORD dst_unused:UNUSED_PAD src0_sel:WORD_0 src1_sel:DWORD
	s_and_saveexec_b64 s[0:1], s[2:3]
	s_cbranch_execz .LBB13_41
; %bb.40:
	global_store_byte_d16_hi v[1:2], v4, off offset:128
.LBB13_41:
	s_or_b64 exec, exec, s[0:1]
	s_mov_b32 s0, 0xc0c0006
	v_or_b32_e32 v5, v5, v25
	v_perm_b32 v4, v4, v6, s0
	v_and_b32_e32 v5, 0xffff, v5
	s_mov_b32 s0, 0xc0c0004
	v_lshl_or_b32 v4, v4, 16, v5
	v_perm_b32 v5, v21, v23, s0
	v_perm_b32 v6, v20, v22, s0
	v_lshl_or_b32 v5, v6, 16, v5
	v_cndmask_b32_e64 v5, v4, v5, s[4:5]
	v_perm_b32 v4, v16, v17, s0
	v_perm_b32 v6, v18, v19, s0
	v_lshl_or_b32 v4, v6, 16, v4
	s_and_saveexec_b64 s[0:1], s[4:5]
	s_cbranch_execz .LBB13_43
; %bb.42:
	v_lshrrev_b32_e32 v5, 24, v5
	global_store_byte v[1:2], v5, off offset:192
.LBB13_43:
	s_or_b64 exec, exec, s[0:1]
	v_cndmask_b32_e64 v4, 0, v4, s[6:7]
	s_and_saveexec_b64 s[0:1], s[6:7]
	s_cbranch_execz .LBB13_45
; %bb.44:
	global_store_byte v[1:2], v4, off offset:256
.LBB13_45:
	s_or_b64 exec, exec, s[0:1]
	s_mov_b32 s0, 0xc0c0004
	v_perm_b32 v5, v16, v17, s0
	v_perm_b32 v7, v18, v19, s0
	v_and_b32_e32 v6, 0xff, v4
	v_lshl_or_b32 v7, v7, 16, v5
	v_cndmask_b32_e64 v20, v6, v7, s[8:9]
	v_lshrrev_b32_e32 v5, 8, v20
	s_and_saveexec_b64 s[0:1], s[8:9]
	s_cbranch_execz .LBB13_47
; %bb.46:
	global_store_byte v[1:2], v5, off offset:320
.LBB13_47:
	s_or_b64 exec, exec, s[0:1]
	v_and_b32_e32 v20, 0xffffff00, v20
	v_or_b32_e32 v6, v6, v20
	s_mov_b64 vcc, s[10:11]
	v_cndmask_b32_sdwa v6, v6, v7, vcc dst_sel:DWORD dst_unused:UNUSED_PAD src0_sel:WORD_0 src1_sel:DWORD
	s_and_saveexec_b64 s[0:1], s[10:11]
	s_cbranch_execz .LBB13_49
; %bb.48:
	global_store_byte_d16_hi v[1:2], v6, off offset:384
.LBB13_49:
	s_or_b64 exec, exec, s[0:1]
	s_mov_b32 s0, 0xc0c0004
	v_perm_b32 v4, v4, v5, s0
	s_mov_b32 s1, 0xff0000
	v_and_or_b32 v4, v6, s1, v4
	v_perm_b32 v5, v16, v17, s0
	v_perm_b32 v6, v18, v19, s0
	v_lshl_or_b32 v5, v6, 16, v5
	v_cndmask_b32_e64 v5, v4, v5, s[12:13]
	v_perm_b32 v4, v12, v13, s0
	v_perm_b32 v6, v14, v15, s0
	v_lshl_or_b32 v4, v6, 16, v4
	s_and_saveexec_b64 s[0:1], s[12:13]
	s_cbranch_execz .LBB13_51
; %bb.50:
	v_lshrrev_b32_e32 v5, 24, v5
	global_store_byte v[1:2], v5, off offset:448
.LBB13_51:
	s_or_b64 exec, exec, s[0:1]
	v_lshl_or_b32 v5, v3, 24, 0
	v_cndmask_b32_e64 v4, v5, v4, s[14:15]
	s_and_saveexec_b64 s[0:1], s[14:15]
	s_cbranch_execz .LBB13_53
; %bb.52:
	global_store_byte v[1:2], v4, off offset:512
.LBB13_53:
	s_or_b64 exec, exec, s[0:1]
	s_mov_b32 s0, 0xc0c0004
	s_mov_b32 s1, 0x40c0c00
	v_perm_b32 v6, v12, v13, s0
	v_perm_b32 v7, v14, v15, s0
	;; [unrolled: 1-line block ×3, first 2 shown]
	v_lshl_or_b32 v6, v7, 16, v6
	v_cndmask_b32_e64 v7, v5, v6, s[16:17]
	v_lshrrev_b32_e32 v5, 8, v7
	s_and_saveexec_b64 s[0:1], s[16:17]
	s_cbranch_execz .LBB13_55
; %bb.54:
	global_store_byte v[1:2], v5, off offset:576
.LBB13_55:
	s_or_b64 exec, exec, s[0:1]
	s_mov_b32 s0, 0xc0c0104
	v_perm_b32 v7, v4, v7, s0
	v_lshl_or_b32 v7, v3, 24, v7
	v_cndmask_b32_e64 v6, v7, v6, s[18:19]
	s_and_saveexec_b64 s[0:1], s[18:19]
	s_cbranch_execz .LBB13_57
; %bb.56:
	global_store_byte_d16_hi v[1:2], v6, off offset:640
.LBB13_57:
	s_or_b64 exec, exec, s[0:1]
	s_mov_b32 s0, 0xc0c0004
	s_mov_b32 s1, 0xc0c0006
	v_perm_b32 v4, v4, v5, s0
	v_perm_b32 v3, v6, v3, s1
	v_lshl_or_b32 v3, v3, 16, v4
	v_perm_b32 v4, v12, v13, s0
	v_perm_b32 v5, v14, v15, s0
	v_lshl_or_b32 v4, v5, 16, v4
	v_cndmask_b32_e64 v4, v3, v4, s[20:21]
	v_perm_b32 v3, v8, v9, s0
	v_perm_b32 v5, v10, v11, s0
	v_lshl_or_b32 v3, v5, 16, v3
	s_and_saveexec_b64 s[0:1], s[20:21]
	s_cbranch_execz .LBB13_59
; %bb.58:
	v_lshrrev_b32_e32 v4, 24, v4
	global_store_byte v[1:2], v4, off offset:704
.LBB13_59:
	s_or_b64 exec, exec, s[0:1]
	v_cndmask_b32_e64 v4, 0, v3, s[22:23]
	s_and_saveexec_b64 s[0:1], s[22:23]
	s_cbranch_execz .LBB13_61
; %bb.60:
	global_store_byte v[1:2], v4, off offset:768
.LBB13_61:
	s_or_b64 exec, exec, s[0:1]
	s_mov_b32 s0, 0xc0c0004
	v_perm_b32 v3, v8, v9, s0
	v_perm_b32 v5, v10, v11, s0
	v_lshl_or_b32 v3, v5, 16, v3
	s_mov_b64 vcc, s[24:25]
	v_cndmask_b32_sdwa v3, v4, v3, vcc dst_sel:DWORD dst_unused:UNUSED_PAD src0_sel:BYTE_0 src1_sel:DWORD
	v_lshrrev_b32_e32 v5, 8, v3
	s_and_saveexec_b64 s[0:1], s[24:25]
	s_cbranch_execnz .LBB13_69
; %bb.62:
	s_or_b64 exec, exec, s[0:1]
	s_and_saveexec_b64 s[0:1], s[26:27]
	s_cbranch_execnz .LBB13_70
.LBB13_63:
	s_or_b64 exec, exec, s[0:1]
                                        ; implicit-def: $vgpr3
	s_and_saveexec_b64 s[0:1], s[28:29]
.LBB13_64:
	s_mov_b32 s2, 0xc0c0004
	v_perm_b32 v1, v8, v9, s2
	v_perm_b32 v2, v10, v11, s2
	v_lshl_or_b32 v1, v2, 16, v1
	v_perm_b32 v2, v4, v5, s2
	v_cndmask_b32_e64 v1, v2, v1, s[28:29]
	v_lshrrev_b32_e32 v3, 24, v1
	s_or_b64 s[36:37], s[36:37], exec
.LBB13_65:
	s_or_b64 exec, exec, s[0:1]
.LBB13_66:
	s_and_saveexec_b64 s[0:1], s[36:37]
	s_cbranch_execnz .LBB13_68
; %bb.67:
	s_endpgm
.LBB13_68:
	s_add_u32 s0, s34, s33
	s_addc_u32 s1, s35, 0
	v_mov_b32_e32 v1, s1
	v_add_co_u32_e32 v0, vcc, s0, v0
	v_addc_co_u32_e32 v1, vcc, 0, v1, vcc
	s_waitcnt vmcnt(15)
	global_store_byte v[0:1], v3, off offset:960
	s_endpgm
.LBB13_69:
	global_store_byte v[1:2], v5, off offset:832
	s_or_b64 exec, exec, s[0:1]
	s_and_saveexec_b64 s[0:1], s[26:27]
	s_cbranch_execz .LBB13_63
.LBB13_70:
	s_mov_b32 s2, 0xc0c0004
	v_perm_b32 v3, v8, v9, s2
	v_perm_b32 v6, v10, v11, s2
	v_lshl_or_b32 v3, v6, 16, v3
	v_perm_b32 v6, v4, v5, s2
	v_cndmask_b32_e64 v3, v6, v3, s[26:27]
	global_store_byte_d16_hi v[1:2], v3, off offset:896
	s_or_b64 exec, exec, s[0:1]
                                        ; implicit-def: $vgpr3
	s_and_saveexec_b64 s[0:1], s[28:29]
	s_cbranch_execnz .LBB13_64
	s_branch .LBB13_65
	.section	.rodata,"a",@progbits
	.p2align	6, 0x0
	.amdhsa_kernel _ZN7rocprim17ROCPRIM_304000_NS6detail16transform_kernelINS1_24wrapped_transform_configINS0_14default_configEaEEaPaS6_NS0_8identityIaEEEEvT1_mT2_T3_
		.amdhsa_group_segment_fixed_size 0
		.amdhsa_private_segment_fixed_size 0
		.amdhsa_kernarg_size 288
		.amdhsa_user_sgpr_count 6
		.amdhsa_user_sgpr_private_segment_buffer 1
		.amdhsa_user_sgpr_dispatch_ptr 0
		.amdhsa_user_sgpr_queue_ptr 0
		.amdhsa_user_sgpr_kernarg_segment_ptr 1
		.amdhsa_user_sgpr_dispatch_id 0
		.amdhsa_user_sgpr_flat_scratch_init 0
		.amdhsa_user_sgpr_private_segment_size 0
		.amdhsa_uses_dynamic_stack 0
		.amdhsa_system_sgpr_private_segment_wavefront_offset 0
		.amdhsa_system_sgpr_workgroup_id_x 1
		.amdhsa_system_sgpr_workgroup_id_y 0
		.amdhsa_system_sgpr_workgroup_id_z 0
		.amdhsa_system_sgpr_workgroup_info 0
		.amdhsa_system_vgpr_workitem_id 0
		.amdhsa_next_free_vgpr 27
		.amdhsa_next_free_sgpr 38
		.amdhsa_reserve_vcc 1
		.amdhsa_reserve_flat_scratch 0
		.amdhsa_float_round_mode_32 0
		.amdhsa_float_round_mode_16_64 0
		.amdhsa_float_denorm_mode_32 3
		.amdhsa_float_denorm_mode_16_64 3
		.amdhsa_dx10_clamp 1
		.amdhsa_ieee_mode 1
		.amdhsa_fp16_overflow 0
		.amdhsa_exception_fp_ieee_invalid_op 0
		.amdhsa_exception_fp_denorm_src 0
		.amdhsa_exception_fp_ieee_div_zero 0
		.amdhsa_exception_fp_ieee_overflow 0
		.amdhsa_exception_fp_ieee_underflow 0
		.amdhsa_exception_fp_ieee_inexact 0
		.amdhsa_exception_int_div_zero 0
	.end_amdhsa_kernel
	.section	.text._ZN7rocprim17ROCPRIM_304000_NS6detail16transform_kernelINS1_24wrapped_transform_configINS0_14default_configEaEEaPaS6_NS0_8identityIaEEEEvT1_mT2_T3_,"axG",@progbits,_ZN7rocprim17ROCPRIM_304000_NS6detail16transform_kernelINS1_24wrapped_transform_configINS0_14default_configEaEEaPaS6_NS0_8identityIaEEEEvT1_mT2_T3_,comdat
.Lfunc_end13:
	.size	_ZN7rocprim17ROCPRIM_304000_NS6detail16transform_kernelINS1_24wrapped_transform_configINS0_14default_configEaEEaPaS6_NS0_8identityIaEEEEvT1_mT2_T3_, .Lfunc_end13-_ZN7rocprim17ROCPRIM_304000_NS6detail16transform_kernelINS1_24wrapped_transform_configINS0_14default_configEaEEaPaS6_NS0_8identityIaEEEEvT1_mT2_T3_
                                        ; -- End function
	.set _ZN7rocprim17ROCPRIM_304000_NS6detail16transform_kernelINS1_24wrapped_transform_configINS0_14default_configEaEEaPaS6_NS0_8identityIaEEEEvT1_mT2_T3_.num_vgpr, 27
	.set _ZN7rocprim17ROCPRIM_304000_NS6detail16transform_kernelINS1_24wrapped_transform_configINS0_14default_configEaEEaPaS6_NS0_8identityIaEEEEvT1_mT2_T3_.num_agpr, 0
	.set _ZN7rocprim17ROCPRIM_304000_NS6detail16transform_kernelINS1_24wrapped_transform_configINS0_14default_configEaEEaPaS6_NS0_8identityIaEEEEvT1_mT2_T3_.numbered_sgpr, 38
	.set _ZN7rocprim17ROCPRIM_304000_NS6detail16transform_kernelINS1_24wrapped_transform_configINS0_14default_configEaEEaPaS6_NS0_8identityIaEEEEvT1_mT2_T3_.num_named_barrier, 0
	.set _ZN7rocprim17ROCPRIM_304000_NS6detail16transform_kernelINS1_24wrapped_transform_configINS0_14default_configEaEEaPaS6_NS0_8identityIaEEEEvT1_mT2_T3_.private_seg_size, 0
	.set _ZN7rocprim17ROCPRIM_304000_NS6detail16transform_kernelINS1_24wrapped_transform_configINS0_14default_configEaEEaPaS6_NS0_8identityIaEEEEvT1_mT2_T3_.uses_vcc, 1
	.set _ZN7rocprim17ROCPRIM_304000_NS6detail16transform_kernelINS1_24wrapped_transform_configINS0_14default_configEaEEaPaS6_NS0_8identityIaEEEEvT1_mT2_T3_.uses_flat_scratch, 0
	.set _ZN7rocprim17ROCPRIM_304000_NS6detail16transform_kernelINS1_24wrapped_transform_configINS0_14default_configEaEEaPaS6_NS0_8identityIaEEEEvT1_mT2_T3_.has_dyn_sized_stack, 0
	.set _ZN7rocprim17ROCPRIM_304000_NS6detail16transform_kernelINS1_24wrapped_transform_configINS0_14default_configEaEEaPaS6_NS0_8identityIaEEEEvT1_mT2_T3_.has_recursion, 0
	.set _ZN7rocprim17ROCPRIM_304000_NS6detail16transform_kernelINS1_24wrapped_transform_configINS0_14default_configEaEEaPaS6_NS0_8identityIaEEEEvT1_mT2_T3_.has_indirect_call, 0
	.section	.AMDGPU.csdata,"",@progbits
; Kernel info:
; codeLenInByte = 2276
; TotalNumSgprs: 42
; NumVgprs: 27
; ScratchSize: 0
; MemoryBound: 0
; FloatMode: 240
; IeeeMode: 1
; LDSByteSize: 0 bytes/workgroup (compile time only)
; SGPRBlocks: 5
; VGPRBlocks: 6
; NumSGPRsForWavesPerEU: 42
; NumVGPRsForWavesPerEU: 27
; Occupancy: 9
; WaveLimiterHint : 0
; COMPUTE_PGM_RSRC2:SCRATCH_EN: 0
; COMPUTE_PGM_RSRC2:USER_SGPR: 6
; COMPUTE_PGM_RSRC2:TRAP_HANDLER: 0
; COMPUTE_PGM_RSRC2:TGID_X_EN: 1
; COMPUTE_PGM_RSRC2:TGID_Y_EN: 0
; COMPUTE_PGM_RSRC2:TGID_Z_EN: 0
; COMPUTE_PGM_RSRC2:TIDIG_COMP_CNT: 0
	.section	.text._ZN7rocprim17ROCPRIM_304000_NS6detail18single_scan_kernelILb0ENS1_19wrapped_scan_configINS0_14default_configEaEEPKaPaSt10multipliesIaEaaEEvT1_mT4_T2_T3_,"axG",@progbits,_ZN7rocprim17ROCPRIM_304000_NS6detail18single_scan_kernelILb0ENS1_19wrapped_scan_configINS0_14default_configEaEEPKaPaSt10multipliesIaEaaEEvT1_mT4_T2_T3_,comdat
	.protected	_ZN7rocprim17ROCPRIM_304000_NS6detail18single_scan_kernelILb0ENS1_19wrapped_scan_configINS0_14default_configEaEEPKaPaSt10multipliesIaEaaEEvT1_mT4_T2_T3_ ; -- Begin function _ZN7rocprim17ROCPRIM_304000_NS6detail18single_scan_kernelILb0ENS1_19wrapped_scan_configINS0_14default_configEaEEPKaPaSt10multipliesIaEaaEEvT1_mT4_T2_T3_
	.globl	_ZN7rocprim17ROCPRIM_304000_NS6detail18single_scan_kernelILb0ENS1_19wrapped_scan_configINS0_14default_configEaEEPKaPaSt10multipliesIaEaaEEvT1_mT4_T2_T3_
	.p2align	8
	.type	_ZN7rocprim17ROCPRIM_304000_NS6detail18single_scan_kernelILb0ENS1_19wrapped_scan_configINS0_14default_configEaEEPKaPaSt10multipliesIaEaaEEvT1_mT4_T2_T3_,@function
_ZN7rocprim17ROCPRIM_304000_NS6detail18single_scan_kernelILb0ENS1_19wrapped_scan_configINS0_14default_configEaEEPKaPaSt10multipliesIaEaaEEvT1_mT4_T2_T3_: ; @_ZN7rocprim17ROCPRIM_304000_NS6detail18single_scan_kernelILb0ENS1_19wrapped_scan_configINS0_14default_configEaEEPKaPaSt10multipliesIaEaaEEvT1_mT4_T2_T3_
; %bb.0:
	s_load_dwordx4 s[48:51], s[4:5], 0x0
	v_mov_b32_e32 v1, 0
	s_waitcnt lgkmcnt(0)
	global_load_ubyte v9, v1, s[48:49]
	v_mov_b32_e32 v1, s49
	v_add_co_u32_e32 v7, vcc, s48, v0
	v_addc_co_u32_e32 v8, vcc, 0, v1, vcc
	s_waitcnt vmcnt(0)
	v_readfirstlane_b32 s0, v9
	s_lshl_b32 s1, s0, 8
	s_or_b32 s0, s0, s1
	s_and_b32 s1, s0, 0xffff
	s_lshl_b32 s0, s0, 16
	s_or_b32 s8, s1, s0
	s_mov_b32 s9, s8
	s_mov_b32 s10, s8
	;; [unrolled: 1-line block ×5, first 2 shown]
	v_mov_b32_e32 v1, s8
	v_cmp_gt_u32_e64 s[0:1], s50, v0
	v_mov_b32_e32 v2, s9
	v_mov_b32_e32 v3, s10
	;; [unrolled: 1-line block ×5, first 2 shown]
	s_and_saveexec_b64 s[2:3], s[0:1]
	s_cbranch_execz .LBB14_2
; %bb.1:
	global_load_ubyte v9, v[7:8], off
	v_mov_b32_e32 v1, 0x3020104
	v_mov_b32_e32 v2, s8
	;; [unrolled: 1-line block ×6, first 2 shown]
	s_waitcnt vmcnt(0)
	v_perm_b32 v1, v9, s8, v1
.LBB14_2:
	s_or_b64 exec, exec, s[2:3]
	v_or_b32_e32 v10, 0x100, v0
	v_cmp_gt_u32_e64 s[2:3], s50, v10
	s_and_saveexec_b64 s[6:7], s[2:3]
	s_cbranch_execz .LBB14_4
; %bb.3:
	global_load_ubyte v10, v[7:8], off offset:256
	s_mov_b32 s8, 0x7060004
	s_waitcnt vmcnt(0)
	v_perm_b32 v1, v1, v10, s8
.LBB14_4:
	s_or_b64 exec, exec, s[6:7]
	v_or_b32_e32 v10, 0x200, v0
	v_cmp_gt_u32_e64 s[6:7], s50, v10
	s_and_saveexec_b64 s[8:9], s[6:7]
	s_cbranch_execz .LBB14_6
; %bb.5:
	global_load_ubyte v10, v[7:8], off offset:512
	s_mov_b32 s10, 0x7000504
	s_waitcnt vmcnt(0)
	v_perm_b32 v1, v1, v10, s10
.LBB14_6:
	s_or_b64 exec, exec, s[8:9]
	v_or_b32_e32 v10, 0x300, v0
	v_cmp_gt_u32_e64 s[8:9], s50, v10
	s_and_saveexec_b64 s[10:11], s[8:9]
	s_cbranch_execz .LBB14_8
; %bb.7:
	global_load_ubyte v10, v[7:8], off offset:768
	s_mov_b32 s12, 0x60504
	s_waitcnt vmcnt(0)
	v_perm_b32 v1, v1, v10, s12
.LBB14_8:
	s_or_b64 exec, exec, s[10:11]
	v_or_b32_e32 v10, 0x400, v0
	v_cmp_gt_u32_e64 s[10:11], s50, v10
	s_and_saveexec_b64 s[12:13], s[10:11]
	s_cbranch_execz .LBB14_10
; %bb.9:
	global_load_ubyte v10, v[7:8], off offset:1024
	s_mov_b32 s14, 0x3020104
	s_waitcnt vmcnt(0)
	v_perm_b32 v2, v10, v2, s14
.LBB14_10:
	s_or_b64 exec, exec, s[12:13]
	v_or_b32_e32 v10, 0x500, v0
	v_cmp_gt_u32_e64 s[12:13], s50, v10
	s_and_saveexec_b64 s[14:15], s[12:13]
	s_cbranch_execz .LBB14_12
; %bb.11:
	global_load_ubyte v10, v[7:8], off offset:1280
	s_mov_b32 s16, 0x7060004
	s_waitcnt vmcnt(0)
	v_perm_b32 v2, v2, v10, s16
.LBB14_12:
	s_or_b64 exec, exec, s[14:15]
	v_or_b32_e32 v10, 0x600, v0
	v_cmp_gt_u32_e64 s[14:15], s50, v10
	s_and_saveexec_b64 s[16:17], s[14:15]
	s_cbranch_execz .LBB14_14
; %bb.13:
	global_load_ubyte v10, v[7:8], off offset:1536
	s_mov_b32 s18, 0x7000504
	s_waitcnt vmcnt(0)
	v_perm_b32 v2, v2, v10, s18
.LBB14_14:
	s_or_b64 exec, exec, s[16:17]
	v_or_b32_e32 v10, 0x700, v0
	v_cmp_gt_u32_e64 s[16:17], s50, v10
	s_and_saveexec_b64 s[18:19], s[16:17]
	s_cbranch_execz .LBB14_16
; %bb.15:
	global_load_ubyte v10, v[7:8], off offset:1792
	s_mov_b32 s20, 0x60504
	s_waitcnt vmcnt(0)
	v_perm_b32 v2, v2, v10, s20
.LBB14_16:
	s_or_b64 exec, exec, s[18:19]
	v_or_b32_e32 v10, 0x800, v0
	v_cmp_gt_u32_e64 s[18:19], s50, v10
	s_and_saveexec_b64 s[20:21], s[18:19]
	s_cbranch_execz .LBB14_18
; %bb.17:
	global_load_ubyte v10, v[7:8], off offset:2048
	s_mov_b32 s22, 0x3020104
	s_waitcnt vmcnt(0)
	v_perm_b32 v3, v10, v3, s22
.LBB14_18:
	s_or_b64 exec, exec, s[20:21]
	v_or_b32_e32 v10, 0x900, v0
	v_cmp_gt_u32_e64 s[20:21], s50, v10
	s_and_saveexec_b64 s[22:23], s[20:21]
	s_cbranch_execz .LBB14_20
; %bb.19:
	global_load_ubyte v10, v[7:8], off offset:2304
	s_mov_b32 s24, 0x7060004
	s_waitcnt vmcnt(0)
	v_perm_b32 v3, v3, v10, s24
.LBB14_20:
	s_or_b64 exec, exec, s[22:23]
	v_or_b32_e32 v10, 0xa00, v0
	v_cmp_gt_u32_e64 s[22:23], s50, v10
	s_and_saveexec_b64 s[24:25], s[22:23]
	s_cbranch_execz .LBB14_22
; %bb.21:
	global_load_ubyte v10, v[7:8], off offset:2560
	s_mov_b32 s26, 0x7000504
	s_waitcnt vmcnt(0)
	v_perm_b32 v3, v3, v10, s26
.LBB14_22:
	s_or_b64 exec, exec, s[24:25]
	v_or_b32_e32 v10, 0xb00, v0
	v_cmp_gt_u32_e64 s[24:25], s50, v10
	s_and_saveexec_b64 s[26:27], s[24:25]
	s_cbranch_execz .LBB14_24
; %bb.23:
	global_load_ubyte v10, v[7:8], off offset:2816
	s_mov_b32 s28, 0x60504
	s_waitcnt vmcnt(0)
	v_perm_b32 v3, v3, v10, s28
.LBB14_24:
	s_or_b64 exec, exec, s[26:27]
	v_or_b32_e32 v10, 0xc00, v0
	v_cmp_gt_u32_e64 s[26:27], s50, v10
	s_and_saveexec_b64 s[28:29], s[26:27]
	s_cbranch_execz .LBB14_26
; %bb.25:
	global_load_ubyte v10, v[7:8], off offset:3072
	s_mov_b32 s30, 0x3020104
	s_waitcnt vmcnt(0)
	v_perm_b32 v4, v10, v4, s30
.LBB14_26:
	s_or_b64 exec, exec, s[28:29]
	v_or_b32_e32 v10, 0xd00, v0
	v_cmp_gt_u32_e64 s[28:29], s50, v10
	s_and_saveexec_b64 s[30:31], s[28:29]
	s_cbranch_execz .LBB14_28
; %bb.27:
	global_load_ubyte v10, v[7:8], off offset:3328
	s_mov_b32 s33, 0x7060004
	s_waitcnt vmcnt(0)
	v_perm_b32 v4, v4, v10, s33
.LBB14_28:
	s_or_b64 exec, exec, s[30:31]
	v_or_b32_e32 v10, 0xe00, v0
	v_cmp_gt_u32_e64 s[30:31], s50, v10
	s_and_saveexec_b64 s[34:35], s[30:31]
	s_cbranch_execz .LBB14_30
; %bb.29:
	global_load_ubyte v10, v[7:8], off offset:3584
	s_mov_b32 s33, 0x7000504
	s_waitcnt vmcnt(0)
	v_perm_b32 v4, v4, v10, s33
.LBB14_30:
	s_or_b64 exec, exec, s[34:35]
	v_or_b32_e32 v10, 0xf00, v0
	v_cmp_gt_u32_e64 s[34:35], s50, v10
	s_and_saveexec_b64 s[36:37], s[34:35]
	s_cbranch_execz .LBB14_32
; %bb.31:
	global_load_ubyte v10, v[7:8], off offset:3840
	s_mov_b32 s33, 0x60504
	s_waitcnt vmcnt(0)
	v_perm_b32 v4, v4, v10, s33
.LBB14_32:
	s_or_b64 exec, exec, s[36:37]
	v_or_b32_e32 v10, 0x1000, v0
	v_cmp_gt_u32_e64 s[36:37], s50, v10
	s_and_saveexec_b64 s[38:39], s[36:37]
	s_cbranch_execz .LBB14_34
; %bb.33:
	v_add_co_u32_e32 v10, vcc, 0x1000, v7
	v_addc_co_u32_e32 v11, vcc, 0, v8, vcc
	global_load_ubyte v10, v[10:11], off
	s_mov_b32 s33, 0x3020104
	s_waitcnt vmcnt(0)
	v_perm_b32 v5, v10, v5, s33
.LBB14_34:
	s_or_b64 exec, exec, s[38:39]
	v_or_b32_e32 v10, 0x1100, v0
	v_cmp_gt_u32_e64 s[38:39], s50, v10
	s_and_saveexec_b64 s[40:41], s[38:39]
	s_cbranch_execz .LBB14_36
; %bb.35:
	v_add_co_u32_e32 v10, vcc, 0x1000, v7
	v_addc_co_u32_e32 v11, vcc, 0, v8, vcc
	global_load_ubyte v10, v[10:11], off offset:256
	s_mov_b32 s33, 0x7060004
	s_waitcnt vmcnt(0)
	v_perm_b32 v5, v5, v10, s33
.LBB14_36:
	s_or_b64 exec, exec, s[40:41]
	v_or_b32_e32 v10, 0x1200, v0
	v_cmp_gt_u32_e64 s[40:41], s50, v10
	s_and_saveexec_b64 s[42:43], s[40:41]
	s_cbranch_execz .LBB14_38
; %bb.37:
	v_add_co_u32_e32 v10, vcc, 0x1000, v7
	v_addc_co_u32_e32 v11, vcc, 0, v8, vcc
	global_load_ubyte v10, v[10:11], off offset:512
	s_mov_b32 s33, 0x7000504
	s_waitcnt vmcnt(0)
	v_perm_b32 v5, v5, v10, s33
.LBB14_38:
	;; [unrolled: 13-line block ×7, first 2 shown]
	s_or_b64 exec, exec, s[52:53]
	v_lshrrev_b32_e32 v7, 8, v1
	ds_write_b8 v0, v9
	ds_write_b8 v0, v7 offset:256
	ds_write_b8_d16_hi v0, v1 offset:512
	v_lshrrev_b32_e32 v1, 24, v1
	ds_write_b8 v0, v1 offset:768
	ds_write_b8 v0, v2 offset:1024
	v_lshrrev_b32_e32 v1, 8, v2
	ds_write_b8 v0, v1 offset:1280
	ds_write_b8_d16_hi v0, v2 offset:1536
	v_lshrrev_b32_e32 v1, 24, v2
	ds_write_b8 v0, v1 offset:1792
	ds_write_b8 v0, v3 offset:2048
	v_lshrrev_b32_e32 v1, 8, v3
	;; [unrolled: 6-line block ×5, first 2 shown]
	ds_write_b8 v0, v1 offset:5376
	ds_write_b8_d16_hi v0, v6 offset:5632
	v_lshrrev_b32_e32 v1, 24, v6
	v_mad_u32_u24 v5, v0, 23, v0
	ds_write_b8 v0, v1 offset:5888
	s_waitcnt lgkmcnt(0)
	s_barrier
	ds_read2_b64 v[1:4], v5 offset1:1
	ds_read_b64 v[5:6], v5 offset:16
	s_waitcnt lgkmcnt(0)
	s_barrier
	v_lshrrev_b32_e32 v12, 8, v1
	v_mul_lo_u16_e32 v13, v12, v1
	v_mul_lo_u16_sdwa v13, v13, v1 dst_sel:DWORD dst_unused:UNUSED_PAD src0_sel:DWORD src1_sel:WORD_1
	v_mul_lo_u16_sdwa v13, v13, v1 dst_sel:DWORD dst_unused:UNUSED_PAD src0_sel:DWORD src1_sel:BYTE_3
	v_lshrrev_b32_e32 v11, 8, v2
	v_mul_lo_u16_e32 v13, v13, v2
	v_mul_lo_u16_e32 v13, v13, v11
	v_mul_lo_u16_sdwa v13, v13, v2 dst_sel:DWORD dst_unused:UNUSED_PAD src0_sel:DWORD src1_sel:WORD_1
	v_mul_lo_u16_sdwa v13, v13, v2 dst_sel:DWORD dst_unused:UNUSED_PAD src0_sel:DWORD src1_sel:BYTE_3
	v_lshrrev_b32_e32 v10, 8, v3
	v_mul_lo_u16_e32 v13, v13, v3
	;; [unrolled: 5-line block ×5, first 2 shown]
	v_mul_lo_u16_e32 v13, v13, v7
	v_mul_lo_u16_sdwa v13, v13, v6 dst_sel:DWORD dst_unused:UNUSED_PAD src0_sel:DWORD src1_sel:WORD_1
	v_mul_lo_u16_sdwa v14, v13, v6 dst_sel:DWORD dst_unused:UNUSED_PAD src0_sel:DWORD src1_sel:BYTE_3
	v_mbcnt_lo_u32_b32 v13, -1, 0
	v_and_b32_e32 v16, 0xff, v14
	v_mbcnt_hi_u32_b32 v13, -1, v13
	v_and_b32_e32 v15, 15, v13
	v_mov_b32_dpp v17, v16 row_shr:1 row_mask:0xf bank_mask:0xf
	v_mul_lo_u16_e32 v17, v14, v17
	v_and_b32_e32 v18, 0xff, v17
	v_cmp_eq_u32_e32 vcc, 0, v15
	v_cndmask_b32_e32 v16, v18, v16, vcc
	v_cndmask_b32_e32 v14, v17, v14, vcc
	v_cmp_lt_u32_e32 vcc, 1, v15
	v_mov_b32_dpp v17, v16 row_shr:2 row_mask:0xf bank_mask:0xf
	v_mul_lo_u16_e32 v17, v14, v17
	v_and_b32_e32 v18, 0xff, v17
	v_cndmask_b32_e32 v16, v16, v18, vcc
	v_cndmask_b32_e32 v14, v14, v17, vcc
	v_cmp_lt_u32_e32 vcc, 3, v15
	v_mov_b32_dpp v17, v16 row_shr:4 row_mask:0xf bank_mask:0xf
	v_mul_lo_u16_e32 v17, v14, v17
	v_and_b32_e32 v18, 0xff, v17
	;; [unrolled: 6-line block ×3, first 2 shown]
	v_cndmask_b32_e32 v15, v16, v18, vcc
	v_cndmask_b32_e32 v14, v14, v17, vcc
	v_and_b32_e32 v17, 16, v13
	v_mov_b32_dpp v16, v15 row_bcast:15 row_mask:0xf bank_mask:0xf
	v_mul_lo_u16_e32 v16, v14, v16
	v_and_b32_e32 v18, 0xff, v16
	v_cmp_eq_u32_e32 vcc, 0, v17
	v_cndmask_b32_e32 v15, v18, v15, vcc
	v_cndmask_b32_e32 v14, v16, v14, vcc
	v_cmp_lt_u32_e32 vcc, 31, v13
	v_mov_b32_dpp v15, v15 row_bcast:31 row_mask:0xf bank_mask:0xf
	v_cndmask_b32_e32 v15, 1, v15, vcc
	v_mul_lo_u16_e32 v15, v14, v15
	v_or_b32_e32 v14, 63, v0
	v_lshrrev_b32_e32 v16, 6, v0
	v_cmp_eq_u32_e32 vcc, v0, v14
	s_and_saveexec_b64 s[52:53], vcc
; %bb.49:
	ds_write_b8 v16, v15
; %bb.50:
	s_or_b64 exec, exec, s[52:53]
	v_cmp_gt_u32_e32 vcc, 4, v0
	s_waitcnt lgkmcnt(0)
	s_barrier
	s_and_saveexec_b64 s[52:53], vcc
	s_cbranch_execz .LBB14_52
; %bb.51:
	ds_read_u8 v14, v0
	v_and_b32_e32 v17, 3, v13
	v_cmp_eq_u32_e32 vcc, 0, v17
	s_waitcnt lgkmcnt(0)
	v_and_b32_e32 v18, 0xff, v14
	s_nop 1
	v_mov_b32_dpp v19, v18 row_shr:1 row_mask:0xf bank_mask:0xf
	v_mul_lo_u16_e32 v19, v14, v19
	v_cndmask_b32_sdwa v18, v19, v18, vcc dst_sel:DWORD dst_unused:UNUSED_PAD src0_sel:BYTE_0 src1_sel:DWORD
	v_cndmask_b32_e32 v14, v19, v14, vcc
	v_cmp_lt_u32_e32 vcc, 1, v17
	v_mov_b32_dpp v18, v18 row_shr:2 row_mask:0xf bank_mask:0xf
	v_cndmask_b32_e32 v17, 1, v18, vcc
	v_mul_lo_u16_e32 v14, v14, v17
	ds_write_b8 v0, v14
.LBB14_52:
	s_or_b64 exec, exec, s[52:53]
	v_mul_u32_u24_e32 v14, 23, v0
	v_cmp_lt_u32_e32 vcc, 63, v0
	s_waitcnt lgkmcnt(0)
	s_barrier
                                        ; implicit-def: $vgpr17
	s_and_saveexec_b64 s[52:53], vcc
	s_cbranch_execz .LBB14_54
; %bb.53:
	v_add_u32_e32 v16, -1, v16
	ds_read_u8 v17, v16
	s_waitcnt lgkmcnt(0)
	v_mul_lo_u16_e32 v15, v17, v15
.LBB14_54:
	s_or_b64 exec, exec, s[52:53]
	v_subrev_co_u32_e32 v16, vcc, 1, v13
	v_and_b32_e32 v18, 64, v13
	v_cmp_lt_i32_e64 s[52:53], v16, v18
	v_cndmask_b32_e64 v13, v16, v13, s[52:53]
	v_lshlrev_b32_e32 v13, 2, v13
	v_and_b32_e32 v15, 0xff, v15
	ds_bpermute_b32 v13, v13, v15
	s_waitcnt lgkmcnt(0)
	s_barrier
	s_load_dwordx2 s[4:5], s[4:5], 0x18
	v_cndmask_b32_e32 v13, v13, v17, vcc
	v_cmp_ne_u32_e32 vcc, 0, v0
	v_cndmask_b32_e32 v13, 1, v13, vcc
	v_mul_lo_u16_e32 v13, v13, v1
	v_mul_lo_u16_e32 v12, v13, v12
	v_mul_lo_u16_sdwa v15, v12, v1 dst_sel:DWORD dst_unused:UNUSED_PAD src0_sel:DWORD src1_sel:WORD_1
	v_mul_lo_u16_sdwa v1, v15, v1 dst_sel:DWORD dst_unused:UNUSED_PAD src0_sel:DWORD src1_sel:BYTE_3
	v_mul_lo_u16_e32 v16, v1, v2
	v_mul_lo_u16_e32 v11, v16, v11
	v_mul_lo_u16_sdwa v17, v11, v2 dst_sel:DWORD dst_unused:UNUSED_PAD src0_sel:DWORD src1_sel:WORD_1
	v_mul_lo_u16_sdwa v2, v17, v2 dst_sel:DWORD dst_unused:UNUSED_PAD src0_sel:DWORD src1_sel:BYTE_3
	;; [unrolled: 4-line block ×3, first 2 shown]
	v_mul_lo_u16_e32 v20, v3, v4
	v_mul_lo_u16_e32 v9, v20, v9
	v_mul_lo_u16_sdwa v21, v9, v4 dst_sel:DWORD dst_unused:UNUSED_PAD src0_sel:DWORD src1_sel:WORD_1
	v_lshlrev_b16_e32 v12, 8, v12
	v_lshlrev_b16_e32 v1, 8, v1
	;; [unrolled: 1-line block ×4, first 2 shown]
	v_mul_lo_u16_sdwa v4, v21, v4 dst_sel:DWORD dst_unused:UNUSED_PAD src0_sel:DWORD src1_sel:BYTE_3
	v_or_b32_sdwa v12, v13, v12 dst_sel:DWORD dst_unused:UNUSED_PAD src0_sel:BYTE_0 src1_sel:DWORD
	v_or_b32_sdwa v1, v15, v1 dst_sel:WORD_1 dst_unused:UNUSED_PAD src0_sel:BYTE_0 src1_sel:DWORD
	v_or_b32_sdwa v11, v16, v11 dst_sel:DWORD dst_unused:UNUSED_PAD src0_sel:BYTE_0 src1_sel:DWORD
	v_or_b32_sdwa v2, v17, v2 dst_sel:WORD_1 dst_unused:UNUSED_PAD src0_sel:BYTE_0 src1_sel:DWORD
	v_or_b32_sdwa v1, v12, v1 dst_sel:DWORD dst_unused:UNUSED_PAD src0_sel:WORD_0 src1_sel:DWORD
	v_or_b32_sdwa v2, v11, v2 dst_sel:DWORD dst_unused:UNUSED_PAD src0_sel:WORD_0 src1_sel:DWORD
	v_lshlrev_b16_e32 v9, 8, v9
	v_lshlrev_b16_e32 v11, 8, v4
	v_mul_lo_u16_e32 v12, v4, v5
	v_lshlrev_b16_e32 v10, 8, v10
	v_lshlrev_b16_e32 v3, 8, v3
	v_or_b32_sdwa v9, v20, v9 dst_sel:DWORD dst_unused:UNUSED_PAD src0_sel:BYTE_0 src1_sel:DWORD
	v_or_b32_sdwa v11, v21, v11 dst_sel:WORD_1 dst_unused:UNUSED_PAD src0_sel:BYTE_0 src1_sel:DWORD
	v_mul_lo_u16_e32 v8, v12, v8
	v_or_b32_sdwa v10, v18, v10 dst_sel:DWORD dst_unused:UNUSED_PAD src0_sel:BYTE_0 src1_sel:DWORD
	v_or_b32_sdwa v3, v19, v3 dst_sel:WORD_1 dst_unused:UNUSED_PAD src0_sel:BYTE_0 src1_sel:DWORD
	v_or_b32_sdwa v4, v9, v11 dst_sel:DWORD dst_unused:UNUSED_PAD src0_sel:WORD_0 src1_sel:DWORD
	v_mul_lo_u16_sdwa v9, v8, v5 dst_sel:DWORD dst_unused:UNUSED_PAD src0_sel:DWORD src1_sel:WORD_1
	v_or_b32_sdwa v3, v10, v3 dst_sel:DWORD dst_unused:UNUSED_PAD src0_sel:WORD_0 src1_sel:DWORD
	v_mul_lo_u16_sdwa v5, v9, v5 dst_sel:DWORD dst_unused:UNUSED_PAD src0_sel:DWORD src1_sel:BYTE_3
	v_add_u32_e32 v10, v0, v14
	ds_write2_b64 v10, v[1:2], v[3:4] offset1:1
	v_mul_lo_u16_e32 v2, v5, v6
	v_mul_lo_u16_e32 v3, v2, v7
	v_mul_lo_u16_sdwa v4, v3, v6 dst_sel:DWORD dst_unused:UNUSED_PAD src0_sel:DWORD src1_sel:WORD_1
	v_mul_lo_u16_sdwa v6, v4, v6 dst_sel:BYTE_1 dst_unused:UNUSED_PAD src0_sel:DWORD src1_sel:BYTE_3
	v_lshlrev_b16_e32 v1, 8, v8
	v_lshlrev_b16_e32 v5, 8, v5
	;; [unrolled: 1-line block ×3, first 2 shown]
	v_or_b32_sdwa v1, v12, v1 dst_sel:DWORD dst_unused:UNUSED_PAD src0_sel:BYTE_0 src1_sel:DWORD
	v_or_b32_sdwa v5, v9, v5 dst_sel:WORD_1 dst_unused:UNUSED_PAD src0_sel:BYTE_0 src1_sel:DWORD
	v_or_b32_sdwa v2, v2, v3 dst_sel:DWORD dst_unused:UNUSED_PAD src0_sel:BYTE_0 src1_sel:DWORD
	v_or_b32_sdwa v3, v4, v6 dst_sel:WORD_1 dst_unused:UNUSED_PAD src0_sel:BYTE_0 src1_sel:DWORD
	v_or_b32_sdwa v1, v1, v5 dst_sel:DWORD dst_unused:UNUSED_PAD src0_sel:WORD_0 src1_sel:DWORD
	v_or_b32_sdwa v2, v2, v3 dst_sel:DWORD dst_unused:UNUSED_PAD src0_sel:WORD_0 src1_sel:DWORD
	ds_write_b64 v10, v[1:2] offset:16
	s_waitcnt lgkmcnt(0)
	s_barrier
	ds_read_u8 v25, v0 offset:256
	ds_read_u8 v24, v0 offset:512
	;; [unrolled: 1-line block ×23, first 2 shown]
	v_mov_b32_e32 v2, s5
	v_add_co_u32_e32 v1, vcc, s4, v0
	v_addc_co_u32_e32 v2, vcc, 0, v2, vcc
	s_and_saveexec_b64 s[4:5], s[0:1]
	s_cbranch_execnz .LBB14_79
; %bb.55:
	s_or_b64 exec, exec, s[4:5]
	s_and_saveexec_b64 s[0:1], s[2:3]
	s_cbranch_execnz .LBB14_80
.LBB14_56:
	s_or_b64 exec, exec, s[0:1]
	s_and_saveexec_b64 s[0:1], s[6:7]
	s_cbranch_execnz .LBB14_81
.LBB14_57:
	s_or_b64 exec, exec, s[0:1]
	s_and_saveexec_b64 s[0:1], s[8:9]
	s_cbranch_execnz .LBB14_82
.LBB14_58:
	s_or_b64 exec, exec, s[0:1]
	s_and_saveexec_b64 s[0:1], s[10:11]
	s_cbranch_execnz .LBB14_83
.LBB14_59:
	s_or_b64 exec, exec, s[0:1]
	s_and_saveexec_b64 s[0:1], s[12:13]
	s_cbranch_execnz .LBB14_84
.LBB14_60:
	s_or_b64 exec, exec, s[0:1]
	s_and_saveexec_b64 s[0:1], s[14:15]
	s_cbranch_execnz .LBB14_85
.LBB14_61:
	s_or_b64 exec, exec, s[0:1]
	s_and_saveexec_b64 s[0:1], s[16:17]
	s_cbranch_execnz .LBB14_86
.LBB14_62:
	s_or_b64 exec, exec, s[0:1]
	s_and_saveexec_b64 s[0:1], s[18:19]
	s_cbranch_execnz .LBB14_87
.LBB14_63:
	s_or_b64 exec, exec, s[0:1]
	s_and_saveexec_b64 s[0:1], s[20:21]
	s_cbranch_execnz .LBB14_88
.LBB14_64:
	s_or_b64 exec, exec, s[0:1]
	s_and_saveexec_b64 s[0:1], s[22:23]
	s_cbranch_execnz .LBB14_89
.LBB14_65:
	s_or_b64 exec, exec, s[0:1]
	s_and_saveexec_b64 s[0:1], s[24:25]
	s_cbranch_execnz .LBB14_90
.LBB14_66:
	s_or_b64 exec, exec, s[0:1]
	s_and_saveexec_b64 s[0:1], s[26:27]
	s_cbranch_execnz .LBB14_91
.LBB14_67:
	s_or_b64 exec, exec, s[0:1]
	s_and_saveexec_b64 s[0:1], s[28:29]
	s_cbranch_execnz .LBB14_92
.LBB14_68:
	s_or_b64 exec, exec, s[0:1]
	s_and_saveexec_b64 s[0:1], s[30:31]
	s_cbranch_execnz .LBB14_93
.LBB14_69:
	s_or_b64 exec, exec, s[0:1]
	s_and_saveexec_b64 s[0:1], s[34:35]
	s_cbranch_execnz .LBB14_94
.LBB14_70:
	s_or_b64 exec, exec, s[0:1]
	s_and_saveexec_b64 s[0:1], s[36:37]
	s_cbranch_execnz .LBB14_95
.LBB14_71:
	s_or_b64 exec, exec, s[0:1]
	s_and_saveexec_b64 s[0:1], s[38:39]
	s_cbranch_execnz .LBB14_96
.LBB14_72:
	s_or_b64 exec, exec, s[0:1]
	s_and_saveexec_b64 s[0:1], s[40:41]
	s_cbranch_execnz .LBB14_97
.LBB14_73:
	s_or_b64 exec, exec, s[0:1]
	s_and_saveexec_b64 s[0:1], s[42:43]
	s_cbranch_execnz .LBB14_98
.LBB14_74:
	s_or_b64 exec, exec, s[0:1]
	s_and_saveexec_b64 s[0:1], s[44:45]
	s_cbranch_execnz .LBB14_99
.LBB14_75:
	s_or_b64 exec, exec, s[0:1]
	s_and_saveexec_b64 s[0:1], s[46:47]
	s_cbranch_execnz .LBB14_100
.LBB14_76:
	s_or_b64 exec, exec, s[0:1]
	s_and_saveexec_b64 s[0:1], s[48:49]
	s_cbranch_execnz .LBB14_101
.LBB14_77:
	s_or_b64 exec, exec, s[0:1]
	s_and_saveexec_b64 s[0:1], s[50:51]
	s_cbranch_execnz .LBB14_102
.LBB14_78:
	s_endpgm
.LBB14_79:
	ds_read_u8 v0, v0
	s_waitcnt lgkmcnt(0)
	global_store_byte v[1:2], v0, off
	s_or_b64 exec, exec, s[4:5]
	s_and_saveexec_b64 s[0:1], s[2:3]
	s_cbranch_execz .LBB14_56
.LBB14_80:
	s_waitcnt lgkmcnt(14)
	global_store_byte v[1:2], v25, off offset:256
	s_or_b64 exec, exec, s[0:1]
	s_and_saveexec_b64 s[0:1], s[6:7]
	s_cbranch_execz .LBB14_57
.LBB14_81:
	s_waitcnt lgkmcnt(14)
	global_store_byte v[1:2], v24, off offset:512
	s_or_b64 exec, exec, s[0:1]
	s_and_saveexec_b64 s[0:1], s[8:9]
	s_cbranch_execz .LBB14_58
.LBB14_82:
	s_waitcnt lgkmcnt(14)
	global_store_byte v[1:2], v23, off offset:768
	s_or_b64 exec, exec, s[0:1]
	s_and_saveexec_b64 s[0:1], s[10:11]
	s_cbranch_execz .LBB14_59
.LBB14_83:
	s_waitcnt lgkmcnt(14)
	global_store_byte v[1:2], v22, off offset:1024
	s_or_b64 exec, exec, s[0:1]
	s_and_saveexec_b64 s[0:1], s[12:13]
	s_cbranch_execz .LBB14_60
.LBB14_84:
	s_waitcnt lgkmcnt(14)
	global_store_byte v[1:2], v21, off offset:1280
	s_or_b64 exec, exec, s[0:1]
	s_and_saveexec_b64 s[0:1], s[14:15]
	s_cbranch_execz .LBB14_61
.LBB14_85:
	s_waitcnt lgkmcnt(14)
	global_store_byte v[1:2], v20, off offset:1536
	s_or_b64 exec, exec, s[0:1]
	s_and_saveexec_b64 s[0:1], s[16:17]
	s_cbranch_execz .LBB14_62
.LBB14_86:
	s_waitcnt lgkmcnt(14)
	global_store_byte v[1:2], v18, off offset:1792
	s_or_b64 exec, exec, s[0:1]
	s_and_saveexec_b64 s[0:1], s[18:19]
	s_cbranch_execz .LBB14_63
.LBB14_87:
	s_waitcnt lgkmcnt(14)
	global_store_byte v[1:2], v16, off offset:2048
	s_or_b64 exec, exec, s[0:1]
	s_and_saveexec_b64 s[0:1], s[20:21]
	s_cbranch_execz .LBB14_64
.LBB14_88:
	s_waitcnt lgkmcnt(14)
	global_store_byte v[1:2], v19, off offset:2304
	s_or_b64 exec, exec, s[0:1]
	s_and_saveexec_b64 s[0:1], s[22:23]
	s_cbranch_execz .LBB14_65
.LBB14_89:
	s_waitcnt lgkmcnt(13)
	global_store_byte v[1:2], v17, off offset:2560
	s_or_b64 exec, exec, s[0:1]
	s_and_saveexec_b64 s[0:1], s[24:25]
	s_cbranch_execz .LBB14_66
.LBB14_90:
	s_waitcnt lgkmcnt(12)
	global_store_byte v[1:2], v15, off offset:2816
	s_or_b64 exec, exec, s[0:1]
	s_and_saveexec_b64 s[0:1], s[26:27]
	s_cbranch_execz .LBB14_67
.LBB14_91:
	s_waitcnt lgkmcnt(11)
	global_store_byte v[1:2], v14, off offset:3072
	s_or_b64 exec, exec, s[0:1]
	s_and_saveexec_b64 s[0:1], s[28:29]
	s_cbranch_execz .LBB14_68
.LBB14_92:
	s_waitcnt lgkmcnt(10)
	global_store_byte v[1:2], v13, off offset:3328
	s_or_b64 exec, exec, s[0:1]
	s_and_saveexec_b64 s[0:1], s[30:31]
	s_cbranch_execz .LBB14_69
.LBB14_93:
	s_waitcnt lgkmcnt(9)
	global_store_byte v[1:2], v12, off offset:3584
	s_or_b64 exec, exec, s[0:1]
	s_and_saveexec_b64 s[0:1], s[34:35]
	s_cbranch_execz .LBB14_70
.LBB14_94:
	s_waitcnt lgkmcnt(8)
	global_store_byte v[1:2], v11, off offset:3840
	s_or_b64 exec, exec, s[0:1]
	s_and_saveexec_b64 s[0:1], s[36:37]
	s_cbranch_execz .LBB14_71
.LBB14_95:
	s_waitcnt lgkmcnt(8)
	v_add_co_u32_e32 v11, vcc, 0x1000, v1
	v_addc_co_u32_e32 v12, vcc, 0, v2, vcc
	s_waitcnt lgkmcnt(7)
	global_store_byte v[11:12], v10, off
	s_or_b64 exec, exec, s[0:1]
	s_and_saveexec_b64 s[0:1], s[38:39]
	s_cbranch_execz .LBB14_72
.LBB14_96:
	s_waitcnt lgkmcnt(7)
	v_add_co_u32_e32 v10, vcc, 0x1000, v1
	v_addc_co_u32_e32 v11, vcc, 0, v2, vcc
	s_waitcnt lgkmcnt(6)
	global_store_byte v[10:11], v9, off offset:256
	s_or_b64 exec, exec, s[0:1]
	s_and_saveexec_b64 s[0:1], s[40:41]
	s_cbranch_execz .LBB14_73
.LBB14_97:
	s_waitcnt lgkmcnt(6)
	v_add_co_u32_e32 v9, vcc, 0x1000, v1
	v_addc_co_u32_e32 v10, vcc, 0, v2, vcc
	s_waitcnt lgkmcnt(5)
	global_store_byte v[9:10], v8, off offset:512
	s_or_b64 exec, exec, s[0:1]
	s_and_saveexec_b64 s[0:1], s[42:43]
	s_cbranch_execz .LBB14_74
.LBB14_98:
	s_waitcnt lgkmcnt(5)
	v_add_co_u32_e32 v8, vcc, 0x1000, v1
	v_addc_co_u32_e32 v9, vcc, 0, v2, vcc
	s_waitcnt lgkmcnt(4)
	global_store_byte v[8:9], v7, off offset:768
	s_or_b64 exec, exec, s[0:1]
	s_and_saveexec_b64 s[0:1], s[44:45]
	s_cbranch_execz .LBB14_75
.LBB14_99:
	s_waitcnt lgkmcnt(4)
	v_add_co_u32_e32 v7, vcc, 0x1000, v1
	v_addc_co_u32_e32 v8, vcc, 0, v2, vcc
	s_waitcnt lgkmcnt(3)
	global_store_byte v[7:8], v6, off offset:1024
	s_or_b64 exec, exec, s[0:1]
	s_and_saveexec_b64 s[0:1], s[46:47]
	s_cbranch_execz .LBB14_76
.LBB14_100:
	s_waitcnt lgkmcnt(3)
	v_add_co_u32_e32 v6, vcc, 0x1000, v1
	v_addc_co_u32_e32 v7, vcc, 0, v2, vcc
	s_waitcnt lgkmcnt(2)
	global_store_byte v[6:7], v5, off offset:1280
	s_or_b64 exec, exec, s[0:1]
	s_and_saveexec_b64 s[0:1], s[48:49]
	s_cbranch_execz .LBB14_77
.LBB14_101:
	s_waitcnt lgkmcnt(2)
	v_add_co_u32_e32 v5, vcc, 0x1000, v1
	v_addc_co_u32_e32 v6, vcc, 0, v2, vcc
	s_waitcnt lgkmcnt(1)
	global_store_byte v[5:6], v4, off offset:1536
	s_or_b64 exec, exec, s[0:1]
	s_and_saveexec_b64 s[0:1], s[50:51]
	s_cbranch_execz .LBB14_78
.LBB14_102:
	v_add_co_u32_e32 v0, vcc, 0x1000, v1
	v_addc_co_u32_e32 v1, vcc, 0, v2, vcc
	s_waitcnt lgkmcnt(0)
	global_store_byte v[0:1], v3, off offset:1792
	s_endpgm
	.section	.rodata,"a",@progbits
	.p2align	6, 0x0
	.amdhsa_kernel _ZN7rocprim17ROCPRIM_304000_NS6detail18single_scan_kernelILb0ENS1_19wrapped_scan_configINS0_14default_configEaEEPKaPaSt10multipliesIaEaaEEvT1_mT4_T2_T3_
		.amdhsa_group_segment_fixed_size 6144
		.amdhsa_private_segment_fixed_size 0
		.amdhsa_kernarg_size 36
		.amdhsa_user_sgpr_count 6
		.amdhsa_user_sgpr_private_segment_buffer 1
		.amdhsa_user_sgpr_dispatch_ptr 0
		.amdhsa_user_sgpr_queue_ptr 0
		.amdhsa_user_sgpr_kernarg_segment_ptr 1
		.amdhsa_user_sgpr_dispatch_id 0
		.amdhsa_user_sgpr_flat_scratch_init 0
		.amdhsa_user_sgpr_private_segment_size 0
		.amdhsa_uses_dynamic_stack 0
		.amdhsa_system_sgpr_private_segment_wavefront_offset 0
		.amdhsa_system_sgpr_workgroup_id_x 1
		.amdhsa_system_sgpr_workgroup_id_y 0
		.amdhsa_system_sgpr_workgroup_id_z 0
		.amdhsa_system_sgpr_workgroup_info 0
		.amdhsa_system_vgpr_workitem_id 0
		.amdhsa_next_free_vgpr 26
		.amdhsa_next_free_sgpr 54
		.amdhsa_reserve_vcc 1
		.amdhsa_reserve_flat_scratch 0
		.amdhsa_float_round_mode_32 0
		.amdhsa_float_round_mode_16_64 0
		.amdhsa_float_denorm_mode_32 3
		.amdhsa_float_denorm_mode_16_64 3
		.amdhsa_dx10_clamp 1
		.amdhsa_ieee_mode 1
		.amdhsa_fp16_overflow 0
		.amdhsa_exception_fp_ieee_invalid_op 0
		.amdhsa_exception_fp_denorm_src 0
		.amdhsa_exception_fp_ieee_div_zero 0
		.amdhsa_exception_fp_ieee_overflow 0
		.amdhsa_exception_fp_ieee_underflow 0
		.amdhsa_exception_fp_ieee_inexact 0
		.amdhsa_exception_int_div_zero 0
	.end_amdhsa_kernel
	.section	.text._ZN7rocprim17ROCPRIM_304000_NS6detail18single_scan_kernelILb0ENS1_19wrapped_scan_configINS0_14default_configEaEEPKaPaSt10multipliesIaEaaEEvT1_mT4_T2_T3_,"axG",@progbits,_ZN7rocprim17ROCPRIM_304000_NS6detail18single_scan_kernelILb0ENS1_19wrapped_scan_configINS0_14default_configEaEEPKaPaSt10multipliesIaEaaEEvT1_mT4_T2_T3_,comdat
.Lfunc_end14:
	.size	_ZN7rocprim17ROCPRIM_304000_NS6detail18single_scan_kernelILb0ENS1_19wrapped_scan_configINS0_14default_configEaEEPKaPaSt10multipliesIaEaaEEvT1_mT4_T2_T3_, .Lfunc_end14-_ZN7rocprim17ROCPRIM_304000_NS6detail18single_scan_kernelILb0ENS1_19wrapped_scan_configINS0_14default_configEaEEPKaPaSt10multipliesIaEaaEEvT1_mT4_T2_T3_
                                        ; -- End function
	.set _ZN7rocprim17ROCPRIM_304000_NS6detail18single_scan_kernelILb0ENS1_19wrapped_scan_configINS0_14default_configEaEEPKaPaSt10multipliesIaEaaEEvT1_mT4_T2_T3_.num_vgpr, 26
	.set _ZN7rocprim17ROCPRIM_304000_NS6detail18single_scan_kernelILb0ENS1_19wrapped_scan_configINS0_14default_configEaEEPKaPaSt10multipliesIaEaaEEvT1_mT4_T2_T3_.num_agpr, 0
	.set _ZN7rocprim17ROCPRIM_304000_NS6detail18single_scan_kernelILb0ENS1_19wrapped_scan_configINS0_14default_configEaEEPKaPaSt10multipliesIaEaaEEvT1_mT4_T2_T3_.numbered_sgpr, 54
	.set _ZN7rocprim17ROCPRIM_304000_NS6detail18single_scan_kernelILb0ENS1_19wrapped_scan_configINS0_14default_configEaEEPKaPaSt10multipliesIaEaaEEvT1_mT4_T2_T3_.num_named_barrier, 0
	.set _ZN7rocprim17ROCPRIM_304000_NS6detail18single_scan_kernelILb0ENS1_19wrapped_scan_configINS0_14default_configEaEEPKaPaSt10multipliesIaEaaEEvT1_mT4_T2_T3_.private_seg_size, 0
	.set _ZN7rocprim17ROCPRIM_304000_NS6detail18single_scan_kernelILb0ENS1_19wrapped_scan_configINS0_14default_configEaEEPKaPaSt10multipliesIaEaaEEvT1_mT4_T2_T3_.uses_vcc, 1
	.set _ZN7rocprim17ROCPRIM_304000_NS6detail18single_scan_kernelILb0ENS1_19wrapped_scan_configINS0_14default_configEaEEPKaPaSt10multipliesIaEaaEEvT1_mT4_T2_T3_.uses_flat_scratch, 0
	.set _ZN7rocprim17ROCPRIM_304000_NS6detail18single_scan_kernelILb0ENS1_19wrapped_scan_configINS0_14default_configEaEEPKaPaSt10multipliesIaEaaEEvT1_mT4_T2_T3_.has_dyn_sized_stack, 0
	.set _ZN7rocprim17ROCPRIM_304000_NS6detail18single_scan_kernelILb0ENS1_19wrapped_scan_configINS0_14default_configEaEEPKaPaSt10multipliesIaEaaEEvT1_mT4_T2_T3_.has_recursion, 0
	.set _ZN7rocprim17ROCPRIM_304000_NS6detail18single_scan_kernelILb0ENS1_19wrapped_scan_configINS0_14default_configEaEEPKaPaSt10multipliesIaEaaEEvT1_mT4_T2_T3_.has_indirect_call, 0
	.section	.AMDGPU.csdata,"",@progbits
; Kernel info:
; codeLenInByte = 4020
; TotalNumSgprs: 58
; NumVgprs: 26
; ScratchSize: 0
; MemoryBound: 0
; FloatMode: 240
; IeeeMode: 1
; LDSByteSize: 6144 bytes/workgroup (compile time only)
; SGPRBlocks: 7
; VGPRBlocks: 6
; NumSGPRsForWavesPerEU: 58
; NumVGPRsForWavesPerEU: 26
; Occupancy: 9
; WaveLimiterHint : 0
; COMPUTE_PGM_RSRC2:SCRATCH_EN: 0
; COMPUTE_PGM_RSRC2:USER_SGPR: 6
; COMPUTE_PGM_RSRC2:TRAP_HANDLER: 0
; COMPUTE_PGM_RSRC2:TGID_X_EN: 1
; COMPUTE_PGM_RSRC2:TGID_Y_EN: 0
; COMPUTE_PGM_RSRC2:TGID_Z_EN: 0
; COMPUTE_PGM_RSRC2:TIDIG_COMP_CNT: 0
	.section	.text._ZN2at6native32tensor_kernel_scan_innermost_dimIaSt10multipliesIaEEEvPT_PKS4_jjjS4_T0_,"axG",@progbits,_ZN2at6native32tensor_kernel_scan_innermost_dimIaSt10multipliesIaEEEvPT_PKS4_jjjS4_T0_,comdat
	.protected	_ZN2at6native32tensor_kernel_scan_innermost_dimIaSt10multipliesIaEEEvPT_PKS4_jjjS4_T0_ ; -- Begin function _ZN2at6native32tensor_kernel_scan_innermost_dimIaSt10multipliesIaEEEvPT_PKS4_jjjS4_T0_
	.globl	_ZN2at6native32tensor_kernel_scan_innermost_dimIaSt10multipliesIaEEEvPT_PKS4_jjjS4_T0_
	.p2align	8
	.type	_ZN2at6native32tensor_kernel_scan_innermost_dimIaSt10multipliesIaEEEvPT_PKS4_jjjS4_T0_,@function
_ZN2at6native32tensor_kernel_scan_innermost_dimIaSt10multipliesIaEEEvPT_PKS4_jjjS4_T0_: ; @_ZN2at6native32tensor_kernel_scan_innermost_dimIaSt10multipliesIaEEEvPT_PKS4_jjjS4_T0_
; %bb.0:
	s_load_dwordx8 s[12:19], s[4:5], 0x0
	v_mov_b32_e32 v2, v1
	s_waitcnt lgkmcnt(0)
	s_lshl_b32 s7, 2, s18
	v_mul_lo_u32 v1, s7, v2
	s_mul_hi_u32 s0, s16, s17
	s_cmp_lg_u32 s0, 0
	s_mov_b64 s[0:1], -1
	v_add_u32_e32 v14, 0, v1
	s_cbranch_scc1 .LBB15_26
; %bb.1:
	s_load_dword s2, s[4:5], 0x2c
	s_add_u32 s0, s4, 32
	s_addc_u32 s1, s5, 0
	s_waitcnt lgkmcnt(0)
	s_lshr_b32 s2, s2, 16
	s_mul_i32 s24, s6, s2
	s_cmp_ge_u32 s24, s16
	s_cbranch_scc1 .LBB15_25
; %bb.2:
	s_load_dword s25, s[0:1], 0x0
	s_cmp_lg_u32 s17, 0
	s_cselect_b64 s[8:9], -1, 0
	v_lshl_add_u32 v1, 1, s18, v0
	v_cndmask_b32_e64 v4, 0, 1, s[8:9]
	v_cmp_eq_u32_e64 s[0:1], 0, v0
	v_add3_u32 v3, v14, s7, -1
	s_waitcnt lgkmcnt(0)
	s_mul_i32 s25, s25, s2
	s_add_i32 s26, s18, 1
	v_cmp_ne_u32_e64 s[2:3], 1, v4
	v_add_u32_e32 v4, v14, v0
	v_add_u32_e32 v5, v14, v1
	s_branch .LBB15_4
.LBB15_3:                               ;   in Loop: Header=BB15_4 Depth=1
	s_add_i32 s24, s24, s25
	s_cmp_ge_u32 s24, s16
	s_cbranch_scc1 .LBB15_25
.LBB15_4:                               ; =>This Loop Header: Depth=1
                                        ;     Child Loop BB15_7 Depth 2
                                        ;       Child Loop BB15_16 Depth 3
	s_and_b64 vcc, exec, s[2:3]
	s_cbranch_vccnz .LBB15_3
; %bb.5:                                ;   in Loop: Header=BB15_4 Depth=1
	v_add_u32_e32 v10, s24, v2
	v_mul_lo_u32 v8, v10, s17
	v_mov_b32_e32 v7, s15
	v_mov_b32_e32 v9, s13
	v_cmp_le_u32_e64 s[8:9], s16, v10
	v_add_co_u32_e32 v6, vcc, s14, v8
	v_addc_co_u32_e32 v7, vcc, 0, v7, vcc
	v_add_co_u32_e32 v8, vcc, s12, v8
	v_addc_co_u32_e32 v9, vcc, 0, v9, vcc
	v_cmp_gt_u32_e32 vcc, s16, v10
	s_mov_b32 s27, 0
	v_mov_b32_e32 v12, s19
	s_branch .LBB15_7
.LBB15_6:                               ;   in Loop: Header=BB15_7 Depth=2
	s_or_b64 exec, exec, s[20:21]
	ds_read_u8 v12, v3
	s_add_i32 s27, s27, s7
	s_cmp_ge_u32 s27, s17
	s_waitcnt vmcnt(0) lgkmcnt(0)
	s_barrier
	s_cbranch_scc1 .LBB15_3
.LBB15_7:                               ;   Parent Loop BB15_4 Depth=1
                                        ; =>  This Loop Header: Depth=2
                                        ;       Child Loop BB15_16 Depth 3
	v_add_u32_e32 v11, s27, v0
	v_add_u32_e32 v10, s27, v1
	s_and_saveexec_b64 s[20:21], vcc
	s_cbranch_execz .LBB15_14
; %bb.8:                                ;   in Loop: Header=BB15_7 Depth=2
	v_cmp_gt_u32_e64 s[10:11], s17, v11
	v_mov_b32_e32 v13, s19
	s_and_saveexec_b64 s[22:23], s[10:11]
	s_cbranch_execz .LBB15_10
; %bb.9:                                ;   in Loop: Header=BB15_7 Depth=2
	v_add_co_u32_e64 v15, s[10:11], v6, v11
	v_addc_co_u32_e64 v16, s[10:11], 0, v7, s[10:11]
	global_load_ubyte v13, v[15:16], off
.LBB15_10:                              ;   in Loop: Header=BB15_7 Depth=2
	s_or_b64 exec, exec, s[22:23]
	s_waitcnt vmcnt(0)
	ds_write_b8 v4, v13
	v_cmp_gt_u32_e64 s[10:11], s17, v10
	v_mov_b32_e32 v13, s19
	s_and_saveexec_b64 s[22:23], s[10:11]
	s_cbranch_execz .LBB15_12
; %bb.11:                               ;   in Loop: Header=BB15_7 Depth=2
	v_add_co_u32_e64 v15, s[10:11], v6, v10
	v_addc_co_u32_e64 v16, s[10:11], 0, v7, s[10:11]
	global_load_ubyte v13, v[15:16], off
.LBB15_12:                              ;   in Loop: Header=BB15_7 Depth=2
	s_or_b64 exec, exec, s[22:23]
	s_waitcnt vmcnt(0)
	ds_write_b8 v5, v13
	s_and_b64 exec, exec, s[0:1]
	s_cbranch_execz .LBB15_14
; %bb.13:                               ;   in Loop: Header=BB15_7 Depth=2
	ds_read_u8 v13, v14
	s_waitcnt lgkmcnt(0)
	v_mul_lo_u16_e32 v12, v13, v12
	ds_write_b8 v14, v12
.LBB15_14:                              ;   in Loop: Header=BB15_7 Depth=2
	s_or_b64 exec, exec, s[20:21]
	v_mov_b32_e32 v12, 0
	s_mov_b64 s[20:21], 0
	s_waitcnt lgkmcnt(0)
	s_barrier
	s_branch .LBB15_16
.LBB15_15:                              ;   in Loop: Header=BB15_16 Depth=3
	s_or_b64 exec, exec, s[10:11]
	v_cmp_eq_u32_e64 s[10:11], s26, v12
	s_or_b64 s[20:21], s[10:11], s[20:21]
	s_waitcnt lgkmcnt(0)
	s_barrier
	s_andn2_b64 exec, exec, s[20:21]
	s_cbranch_execz .LBB15_20
.LBB15_16:                              ;   Parent Loop BB15_4 Depth=1
                                        ;     Parent Loop BB15_7 Depth=2
                                        ; =>    This Inner Loop Header: Depth=3
	v_add_u32_e32 v13, 1, v12
	s_and_saveexec_b64 s[10:11], s[8:9]
	s_xor_b64 s[10:11], exec, s[10:11]
; %bb.17:                               ;   in Loop: Header=BB15_16 Depth=3
	v_add_u32_e32 v12, 1, v12
                                        ; implicit-def: $vgpr13
; %bb.18:                               ;   in Loop: Header=BB15_16 Depth=3
	s_andn2_saveexec_b64 s[10:11], s[10:11]
	s_cbranch_execz .LBB15_15
; %bb.19:                               ;   in Loop: Header=BB15_16 Depth=3
	v_lshlrev_b32_e64 v15, v12, 1
	v_lshrrev_b32_e32 v16, v12, v0
	v_lshl_or_b32 v15, v16, v13, v15
	v_bfm_b32 v12, v12, 0
	v_and_b32_e32 v12, v12, v0
	v_add_u32_e32 v15, v14, v15
	v_add_u32_e32 v12, v15, v12
	v_add_u32_e32 v15, -1, v15
	ds_read_u8 v16, v12
	ds_read_u8 v15, v15
	s_waitcnt lgkmcnt(0)
	v_mul_lo_u16_e32 v15, v15, v16
	ds_write_b8 v12, v15
	v_mov_b32_e32 v12, v13
	s_branch .LBB15_15
.LBB15_20:                              ;   in Loop: Header=BB15_7 Depth=2
	s_or_b64 exec, exec, s[20:21]
	s_and_saveexec_b64 s[20:21], vcc
	s_cbranch_execz .LBB15_6
; %bb.21:                               ;   in Loop: Header=BB15_7 Depth=2
	v_cmp_gt_u32_e64 s[10:11], s17, v11
	s_and_saveexec_b64 s[22:23], s[10:11]
	s_cbranch_execz .LBB15_23
; %bb.22:                               ;   in Loop: Header=BB15_7 Depth=2
	ds_read_u8 v13, v4
	v_add_co_u32_e64 v11, s[10:11], v8, v11
	v_addc_co_u32_e64 v12, s[10:11], 0, v9, s[10:11]
	s_waitcnt lgkmcnt(0)
	global_store_byte v[11:12], v13, off
.LBB15_23:                              ;   in Loop: Header=BB15_7 Depth=2
	s_or_b64 exec, exec, s[22:23]
	v_cmp_gt_u32_e64 s[10:11], s17, v10
	s_and_b64 exec, exec, s[10:11]
	s_cbranch_execz .LBB15_6
; %bb.24:                               ;   in Loop: Header=BB15_7 Depth=2
	ds_read_u8 v12, v5
	v_add_co_u32_e64 v10, s[10:11], v8, v10
	v_addc_co_u32_e64 v11, s[10:11], 0, v9, s[10:11]
	s_waitcnt lgkmcnt(0)
	global_store_byte v[10:11], v12, off
	s_branch .LBB15_6
.LBB15_25:
	s_mov_b64 s[0:1], 0
.LBB15_26:
	s_andn2_b64 vcc, exec, s[0:1]
	s_cbranch_vccnz .LBB15_53
; %bb.27:
	s_load_dword s2, s[4:5], 0x2c
	s_add_u32 s0, s4, 32
	s_mov_b32 s8, s16
	s_mov_b32 s9, 0
	s_addc_u32 s1, s5, 0
	s_waitcnt lgkmcnt(0)
	s_lshr_b32 s2, s2, 16
	v_mov_b32_e32 v3, s8
	s_mul_hi_u32 s11, s2, s6
	s_mul_i32 s10, s2, s6
	v_mov_b32_e32 v4, s9
	v_cmp_ge_u64_e32 vcc, s[10:11], v[3:4]
	s_cbranch_vccnz .LBB15_53
; %bb.28:
	s_lshl_b32 s20, 1, s18
	s_load_dword s5, s[0:1], 0x0
	s_and_b32 s4, 0xffff, s2
	s_ashr_i32 s21, s20, 31
	s_cmp_lg_u32 s17, 0
	s_cselect_b64 s[2:3], -1, 0
	s_mov_b32 s22, s17
	s_lshl_b64 s[16:17], s[20:21], 1
	v_cndmask_b32_e64 v3, 0, 1, s[2:3]
	v_mov_b32_e32 v1, 0
	s_mov_b32 s23, s9
	v_add_u32_e32 v15, s20, v14
	v_cmp_eq_u32_e64 s[0:1], 0, v0
	v_add3_u32 v16, v14, s16, -1
	s_waitcnt lgkmcnt(0)
	s_mul_i32 s33, s5, s4
	s_add_i32 s18, s18, 1
	v_cmp_ne_u32_e64 s[2:3], 1, v3
	s_branch .LBB15_30
.LBB15_29:                              ;   in Loop: Header=BB15_30 Depth=1
	s_add_u32 s10, s10, s33
	v_mov_b32_e32 v3, s8
	s_addc_u32 s11, s11, 0
	v_mov_b32_e32 v4, s9
	v_cmp_ge_u64_e32 vcc, s[10:11], v[3:4]
	s_cbranch_vccnz .LBB15_53
.LBB15_30:                              ; =>This Loop Header: Depth=1
                                        ;     Child Loop BB15_33 Depth 2
                                        ;       Child Loop BB15_43 Depth 3
	s_and_b64 vcc, exec, s[2:3]
	s_cbranch_vccnz .LBB15_29
; %bb.31:                               ;   in Loop: Header=BB15_30 Depth=1
	v_mov_b32_e32 v3, s11
	v_add_co_u32_e32 v7, vcc, s10, v2
	v_addc_co_u32_e32 v8, vcc, 0, v3, vcc
	v_mov_b32_e32 v3, s14
	v_mov_b32_e32 v5, s12
	;; [unrolled: 1-line block ×4, first 2 shown]
	v_mad_u64_u32 v[3:4], s[4:5], v7, s22, v[3:4]
	v_mul_lo_u32 v9, v8, s22
	v_mad_u64_u32 v[5:6], s[4:5], v7, s22, v[5:6]
	v_cmp_gt_u64_e64 s[4:5], s[8:9], v[7:8]
	v_cmp_le_u64_e64 s[6:7], s[8:9], v[7:8]
	v_add_u32_e32 v4, v9, v4
	v_add_u32_e32 v6, v9, v6
	s_mov_b64 s[24:25], 0
	v_mov_b32_e32 v11, s19
	s_branch .LBB15_33
.LBB15_32:                              ;   in Loop: Header=BB15_33 Depth=2
	s_or_b64 exec, exec, s[26:27]
	ds_read_u8 v11, v16
	s_add_u32 s24, s24, s16
	v_mov_b32_e32 v7, s22
	s_addc_u32 s25, s25, s17
	v_mov_b32_e32 v8, s23
	v_cmp_ge_u64_e32 vcc, s[24:25], v[7:8]
	s_waitcnt lgkmcnt(0)
	s_waitcnt vmcnt(0)
	s_barrier
	s_cbranch_vccnz .LBB15_29
.LBB15_33:                              ;   Parent Loop BB15_30 Depth=1
                                        ; =>  This Loop Header: Depth=2
                                        ;       Child Loop BB15_43 Depth 3
	v_mov_b32_e32 v7, s25
	v_add_co_u32_e32 v9, vcc, s24, v0
	v_addc_co_u32_e32 v10, vcc, 0, v7, vcc
	v_mov_b32_e32 v8, s21
	v_add_co_u32_e32 v7, vcc, s20, v9
	v_addc_co_u32_e32 v8, vcc, v10, v8, vcc
	s_and_saveexec_b64 s[26:27], s[4:5]
	s_cbranch_execz .LBB15_40
; %bb.34:                               ;   in Loop: Header=BB15_33 Depth=2
	v_cmp_gt_u64_e32 vcc, s[22:23], v[9:10]
	v_mov_b32_e32 v12, s19
	s_and_saveexec_b64 s[28:29], vcc
	s_cbranch_execz .LBB15_36
; %bb.35:                               ;   in Loop: Header=BB15_33 Depth=2
	v_add_co_u32_e32 v12, vcc, v3, v9
	v_addc_co_u32_e32 v13, vcc, v4, v10, vcc
	global_load_ubyte v12, v[12:13], off
.LBB15_36:                              ;   in Loop: Header=BB15_33 Depth=2
	s_or_b64 exec, exec, s[28:29]
	v_add_u32_e32 v13, v14, v0
	v_cmp_gt_u64_e32 vcc, s[22:23], v[7:8]
	s_waitcnt vmcnt(0)
	ds_write_b8 v13, v12
	v_mov_b32_e32 v12, s19
	s_and_saveexec_b64 s[28:29], vcc
	s_cbranch_execz .LBB15_38
; %bb.37:                               ;   in Loop: Header=BB15_33 Depth=2
	v_add_co_u32_e32 v12, vcc, v3, v7
	v_addc_co_u32_e32 v13, vcc, v4, v8, vcc
	global_load_ubyte v12, v[12:13], off
.LBB15_38:                              ;   in Loop: Header=BB15_33 Depth=2
	s_or_b64 exec, exec, s[28:29]
	v_add_u32_e32 v13, v15, v0
	s_waitcnt vmcnt(0)
	ds_write_b8 v13, v12
	s_and_b64 exec, exec, s[0:1]
	s_cbranch_execz .LBB15_40
; %bb.39:                               ;   in Loop: Header=BB15_33 Depth=2
	ds_read_u8 v12, v14
	s_waitcnt lgkmcnt(0)
	v_mul_lo_u16_e32 v11, v12, v11
	ds_write_b8 v14, v11
.LBB15_40:                              ;   in Loop: Header=BB15_33 Depth=2
	s_or_b64 exec, exec, s[26:27]
	v_mov_b32_e32 v18, 0
	s_mov_b64 s[26:27], 0
	s_waitcnt lgkmcnt(0)
	s_barrier
	s_branch .LBB15_43
.LBB15_41:                              ;   in Loop: Header=BB15_43 Depth=3
	s_or_b64 exec, exec, s[30:31]
	v_lshrrev_b32_e32 v13, v18, v0
	v_lshl_or_b32 v11, v13, v17, v11
	v_add_u32_e32 v11, v14, v11
	v_add_u32_e32 v12, v11, v12
	v_add_u32_e32 v11, -1, v11
	ds_read_u8 v13, v12
	ds_read_u8 v11, v11
	s_waitcnt lgkmcnt(0)
	v_mul_lo_u16_e32 v11, v11, v13
	ds_write_b8 v12, v11
.LBB15_42:                              ;   in Loop: Header=BB15_43 Depth=3
	s_or_b64 exec, exec, s[28:29]
	v_cmp_eq_u32_e32 vcc, s18, v17
	s_or_b64 s[26:27], vcc, s[26:27]
	v_mov_b32_e32 v18, v17
	s_waitcnt lgkmcnt(0)
	s_barrier
	s_andn2_b64 exec, exec, s[26:27]
	s_cbranch_execz .LBB15_48
.LBB15_43:                              ;   Parent Loop BB15_30 Depth=1
                                        ;     Parent Loop BB15_33 Depth=2
                                        ; =>    This Inner Loop Header: Depth=3
	v_add_u32_e32 v17, 1, v18
	s_and_saveexec_b64 s[28:29], s[6:7]
	s_xor_b64 s[28:29], exec, s[28:29]
; %bb.44:                               ;   in Loop: Header=BB15_43 Depth=3
	v_add_u32_e32 v17, 1, v18
                                        ; implicit-def: $vgpr18
; %bb.45:                               ;   in Loop: Header=BB15_43 Depth=3
	s_andn2_saveexec_b64 s[28:29], s[28:29]
	s_cbranch_execz .LBB15_42
; %bb.46:                               ;   in Loop: Header=BB15_43 Depth=3
	v_lshlrev_b32_e64 v11, v18, 1
	v_ashrrev_i32_e32 v12, 31, v11
	v_cmp_ge_u64_e32 vcc, v[0:1], v[11:12]
	v_mov_b32_e32 v13, v1
	v_mov_b32_e32 v12, v0
	s_and_saveexec_b64 s[30:31], vcc
	s_cbranch_execz .LBB15_41
; %bb.47:                               ;   in Loop: Header=BB15_43 Depth=3
	v_cvt_f32_u32_e32 v12, v11
	v_sub_u32_e32 v13, 0, v11
	v_rcp_iflag_f32_e32 v12, v12
	v_mul_f32_e32 v12, 0x4f7ffffe, v12
	v_cvt_u32_f32_e32 v12, v12
	v_mul_lo_u32 v13, v13, v12
	v_mul_hi_u32 v13, v12, v13
	v_add_u32_e32 v12, v12, v13
	v_mul_hi_u32 v12, v0, v12
	v_mul_lo_u32 v12, v12, v11
	v_sub_u32_e32 v12, v0, v12
	v_sub_u32_e32 v13, v12, v11
	v_cmp_ge_u32_e32 vcc, v12, v11
	v_cndmask_b32_e32 v12, v12, v13, vcc
	v_sub_u32_e32 v13, v12, v11
	v_cmp_ge_u32_e32 vcc, v12, v11
	v_cndmask_b32_e32 v12, v12, v13, vcc
	s_branch .LBB15_41
.LBB15_48:                              ;   in Loop: Header=BB15_33 Depth=2
	s_or_b64 exec, exec, s[26:27]
	s_and_saveexec_b64 s[26:27], s[4:5]
	s_cbranch_execz .LBB15_32
; %bb.49:                               ;   in Loop: Header=BB15_33 Depth=2
	v_cmp_gt_u64_e32 vcc, s[22:23], v[9:10]
	s_and_saveexec_b64 s[28:29], vcc
	s_cbranch_execz .LBB15_51
; %bb.50:                               ;   in Loop: Header=BB15_33 Depth=2
	v_add_u32_e32 v11, v14, v0
	ds_read_u8 v11, v11
	v_add_co_u32_e32 v9, vcc, v5, v9
	v_addc_co_u32_e32 v10, vcc, v6, v10, vcc
	s_waitcnt lgkmcnt(0)
	global_store_byte v[9:10], v11, off
.LBB15_51:                              ;   in Loop: Header=BB15_33 Depth=2
	s_or_b64 exec, exec, s[28:29]
	v_cmp_gt_u64_e32 vcc, s[22:23], v[7:8]
	s_and_b64 exec, exec, vcc
	s_cbranch_execz .LBB15_32
; %bb.52:                               ;   in Loop: Header=BB15_33 Depth=2
	v_add_u32_e32 v9, v15, v0
	ds_read_u8 v9, v9
	v_add_co_u32_e32 v7, vcc, v5, v7
	v_addc_co_u32_e32 v8, vcc, v6, v8, vcc
	s_waitcnt lgkmcnt(0)
	global_store_byte v[7:8], v9, off
	s_branch .LBB15_32
.LBB15_53:
	s_endpgm
	.section	.rodata,"a",@progbits
	.p2align	6, 0x0
	.amdhsa_kernel _ZN2at6native32tensor_kernel_scan_innermost_dimIaSt10multipliesIaEEEvPT_PKS4_jjjS4_T0_
		.amdhsa_group_segment_fixed_size 0
		.amdhsa_private_segment_fixed_size 0
		.amdhsa_kernarg_size 288
		.amdhsa_user_sgpr_count 6
		.amdhsa_user_sgpr_private_segment_buffer 1
		.amdhsa_user_sgpr_dispatch_ptr 0
		.amdhsa_user_sgpr_queue_ptr 0
		.amdhsa_user_sgpr_kernarg_segment_ptr 1
		.amdhsa_user_sgpr_dispatch_id 0
		.amdhsa_user_sgpr_flat_scratch_init 0
		.amdhsa_user_sgpr_private_segment_size 0
		.amdhsa_uses_dynamic_stack 0
		.amdhsa_system_sgpr_private_segment_wavefront_offset 0
		.amdhsa_system_sgpr_workgroup_id_x 1
		.amdhsa_system_sgpr_workgroup_id_y 0
		.amdhsa_system_sgpr_workgroup_id_z 0
		.amdhsa_system_sgpr_workgroup_info 0
		.amdhsa_system_vgpr_workitem_id 1
		.amdhsa_next_free_vgpr 19
		.amdhsa_next_free_sgpr 34
		.amdhsa_reserve_vcc 1
		.amdhsa_reserve_flat_scratch 0
		.amdhsa_float_round_mode_32 0
		.amdhsa_float_round_mode_16_64 0
		.amdhsa_float_denorm_mode_32 3
		.amdhsa_float_denorm_mode_16_64 3
		.amdhsa_dx10_clamp 1
		.amdhsa_ieee_mode 1
		.amdhsa_fp16_overflow 0
		.amdhsa_exception_fp_ieee_invalid_op 0
		.amdhsa_exception_fp_denorm_src 0
		.amdhsa_exception_fp_ieee_div_zero 0
		.amdhsa_exception_fp_ieee_overflow 0
		.amdhsa_exception_fp_ieee_underflow 0
		.amdhsa_exception_fp_ieee_inexact 0
		.amdhsa_exception_int_div_zero 0
	.end_amdhsa_kernel
	.section	.text._ZN2at6native32tensor_kernel_scan_innermost_dimIaSt10multipliesIaEEEvPT_PKS4_jjjS4_T0_,"axG",@progbits,_ZN2at6native32tensor_kernel_scan_innermost_dimIaSt10multipliesIaEEEvPT_PKS4_jjjS4_T0_,comdat
.Lfunc_end15:
	.size	_ZN2at6native32tensor_kernel_scan_innermost_dimIaSt10multipliesIaEEEvPT_PKS4_jjjS4_T0_, .Lfunc_end15-_ZN2at6native32tensor_kernel_scan_innermost_dimIaSt10multipliesIaEEEvPT_PKS4_jjjS4_T0_
                                        ; -- End function
	.set _ZN2at6native32tensor_kernel_scan_innermost_dimIaSt10multipliesIaEEEvPT_PKS4_jjjS4_T0_.num_vgpr, 19
	.set _ZN2at6native32tensor_kernel_scan_innermost_dimIaSt10multipliesIaEEEvPT_PKS4_jjjS4_T0_.num_agpr, 0
	.set _ZN2at6native32tensor_kernel_scan_innermost_dimIaSt10multipliesIaEEEvPT_PKS4_jjjS4_T0_.numbered_sgpr, 34
	.set _ZN2at6native32tensor_kernel_scan_innermost_dimIaSt10multipliesIaEEEvPT_PKS4_jjjS4_T0_.num_named_barrier, 0
	.set _ZN2at6native32tensor_kernel_scan_innermost_dimIaSt10multipliesIaEEEvPT_PKS4_jjjS4_T0_.private_seg_size, 0
	.set _ZN2at6native32tensor_kernel_scan_innermost_dimIaSt10multipliesIaEEEvPT_PKS4_jjjS4_T0_.uses_vcc, 1
	.set _ZN2at6native32tensor_kernel_scan_innermost_dimIaSt10multipliesIaEEEvPT_PKS4_jjjS4_T0_.uses_flat_scratch, 0
	.set _ZN2at6native32tensor_kernel_scan_innermost_dimIaSt10multipliesIaEEEvPT_PKS4_jjjS4_T0_.has_dyn_sized_stack, 0
	.set _ZN2at6native32tensor_kernel_scan_innermost_dimIaSt10multipliesIaEEEvPT_PKS4_jjjS4_T0_.has_recursion, 0
	.set _ZN2at6native32tensor_kernel_scan_innermost_dimIaSt10multipliesIaEEEvPT_PKS4_jjjS4_T0_.has_indirect_call, 0
	.section	.AMDGPU.csdata,"",@progbits
; Kernel info:
; codeLenInByte = 1612
; TotalNumSgprs: 38
; NumVgprs: 19
; ScratchSize: 0
; MemoryBound: 0
; FloatMode: 240
; IeeeMode: 1
; LDSByteSize: 0 bytes/workgroup (compile time only)
; SGPRBlocks: 4
; VGPRBlocks: 4
; NumSGPRsForWavesPerEU: 38
; NumVGPRsForWavesPerEU: 19
; Occupancy: 10
; WaveLimiterHint : 0
; COMPUTE_PGM_RSRC2:SCRATCH_EN: 0
; COMPUTE_PGM_RSRC2:USER_SGPR: 6
; COMPUTE_PGM_RSRC2:TRAP_HANDLER: 0
; COMPUTE_PGM_RSRC2:TGID_X_EN: 1
; COMPUTE_PGM_RSRC2:TGID_Y_EN: 0
; COMPUTE_PGM_RSRC2:TGID_Z_EN: 0
; COMPUTE_PGM_RSRC2:TIDIG_COMP_CNT: 1
	.section	.text._ZN2at6native28tensor_kernel_scan_outer_dimIajSt10multipliesIaEEEvPT_PKS4_jjjS4_T1_,"axG",@progbits,_ZN2at6native28tensor_kernel_scan_outer_dimIajSt10multipliesIaEEEvPT_PKS4_jjjS4_T1_,comdat
	.protected	_ZN2at6native28tensor_kernel_scan_outer_dimIajSt10multipliesIaEEEvPT_PKS4_jjjS4_T1_ ; -- Begin function _ZN2at6native28tensor_kernel_scan_outer_dimIajSt10multipliesIaEEEvPT_PKS4_jjjS4_T1_
	.globl	_ZN2at6native28tensor_kernel_scan_outer_dimIajSt10multipliesIaEEEvPT_PKS4_jjjS4_T1_
	.p2align	8
	.type	_ZN2at6native28tensor_kernel_scan_outer_dimIajSt10multipliesIaEEEvPT_PKS4_jjjS4_T1_,@function
_ZN2at6native28tensor_kernel_scan_outer_dimIajSt10multipliesIaEEEvPT_PKS4_jjjS4_T1_: ; @_ZN2at6native28tensor_kernel_scan_outer_dimIajSt10multipliesIaEEEvPT_PKS4_jjjS4_T1_
; %bb.0:
	s_load_dwordx4 s[8:11], s[4:5], 0x10
	s_waitcnt lgkmcnt(0)
	s_cmp_ge_u32 s6, s8
	s_cbranch_scc1 .LBB16_9
; %bb.1:
	s_load_dword s0, s[4:5], 0x2c
	s_load_dwordx4 s[12:15], s[4:5], 0x0
	s_load_dword s22, s[4:5], 0x20
	s_add_u32 s16, s4, 32
	s_addc_u32 s17, s5, 0
	s_waitcnt lgkmcnt(0)
	s_and_b32 s23, s0, 0xffff
	s_cmp_lg_u32 s10, 0
	s_mul_i32 s2, s6, s10
	s_mul_i32 s7, s7, s23
	;; [unrolled: 1-line block ×3, first 2 shown]
	s_cselect_b64 s[2:3], -1, 0
	v_add_u32_e32 v0, s7, v0
	s_mul_i32 s25, s22, s10
	v_cndmask_b32_e64 v1, 0, 1, s[2:3]
	v_cmp_gt_u32_e64 s[0:1], s9, v0
	s_mov_b32 s7, s9
	s_mul_i32 s25, s25, s9
	v_cmp_ne_u32_e64 s[2:3], 1, v1
	s_branch .LBB16_3
.LBB16_2:                               ;   in Loop: Header=BB16_3 Depth=1
	s_or_b64 exec, exec, s[18:19]
	s_add_i32 s6, s22, s6
	s_add_i32 s24, s24, s25
	s_cmp_ge_u32 s6, s8
	s_cbranch_scc1 .LBB16_9
.LBB16_3:                               ; =>This Loop Header: Depth=1
                                        ;     Child Loop BB16_6 Depth 2
                                        ;       Child Loop BB16_8 Depth 3
	s_and_saveexec_b64 s[18:19], s[0:1]
	s_cbranch_execz .LBB16_2
; %bb.4:                                ;   in Loop: Header=BB16_3 Depth=1
	s_load_dword s26, s[16:17], 0x4
	s_mov_b64 s[20:21], 0
	v_mov_b32_e32 v1, v0
	s_waitcnt lgkmcnt(0)
	s_mul_i32 s26, s26, s23
	s_branch .LBB16_6
.LBB16_5:                               ;   in Loop: Header=BB16_6 Depth=2
	v_add_u32_e32 v1, s26, v1
	v_cmp_le_u32_e32 vcc, s9, v1
	s_or_b64 s[20:21], vcc, s[20:21]
	s_andn2_b64 exec, exec, s[20:21]
	s_cbranch_execz .LBB16_2
.LBB16_6:                               ;   Parent Loop BB16_3 Depth=1
                                        ; =>  This Loop Header: Depth=2
                                        ;       Child Loop BB16_8 Depth 3
	s_and_b64 vcc, exec, s[2:3]
	s_cbranch_vccnz .LBB16_5
; %bb.7:                                ;   in Loop: Header=BB16_6 Depth=2
	v_add_co_u32_e32 v2, vcc, s24, v1
	v_addc_co_u32_e64 v3, s[4:5], 0, 0, vcc
	v_mov_b32_e32 v4, s11
	s_mov_b32 s27, s10
.LBB16_8:                               ;   Parent Loop BB16_3 Depth=1
                                        ;     Parent Loop BB16_6 Depth=2
                                        ; =>    This Inner Loop Header: Depth=3
	v_mov_b32_e32 v6, s15
	v_add_co_u32_e32 v5, vcc, s14, v2
	v_addc_co_u32_e32 v6, vcc, v6, v3, vcc
	global_load_ubyte v7, v[5:6], off
	v_mov_b32_e32 v6, s13
	v_add_co_u32_e32 v5, vcc, s12, v2
	s_add_i32 s27, s27, -1
	v_add_co_u32_e64 v2, s[4:5], s7, v2
	v_addc_co_u32_e32 v6, vcc, v6, v3, vcc
	v_addc_co_u32_e64 v3, vcc, 0, v3, s[4:5]
	s_cmp_eq_u32 s27, 0
	s_waitcnt vmcnt(0)
	v_mul_lo_u16_e32 v4, v7, v4
	global_store_byte v[5:6], v4, off
	s_cbranch_scc0 .LBB16_8
	s_branch .LBB16_5
.LBB16_9:
	s_endpgm
	.section	.rodata,"a",@progbits
	.p2align	6, 0x0
	.amdhsa_kernel _ZN2at6native28tensor_kernel_scan_outer_dimIajSt10multipliesIaEEEvPT_PKS4_jjjS4_T1_
		.amdhsa_group_segment_fixed_size 0
		.amdhsa_private_segment_fixed_size 0
		.amdhsa_kernarg_size 288
		.amdhsa_user_sgpr_count 6
		.amdhsa_user_sgpr_private_segment_buffer 1
		.amdhsa_user_sgpr_dispatch_ptr 0
		.amdhsa_user_sgpr_queue_ptr 0
		.amdhsa_user_sgpr_kernarg_segment_ptr 1
		.amdhsa_user_sgpr_dispatch_id 0
		.amdhsa_user_sgpr_flat_scratch_init 0
		.amdhsa_user_sgpr_private_segment_size 0
		.amdhsa_uses_dynamic_stack 0
		.amdhsa_system_sgpr_private_segment_wavefront_offset 0
		.amdhsa_system_sgpr_workgroup_id_x 1
		.amdhsa_system_sgpr_workgroup_id_y 1
		.amdhsa_system_sgpr_workgroup_id_z 0
		.amdhsa_system_sgpr_workgroup_info 0
		.amdhsa_system_vgpr_workitem_id 0
		.amdhsa_next_free_vgpr 8
		.amdhsa_next_free_sgpr 28
		.amdhsa_reserve_vcc 1
		.amdhsa_reserve_flat_scratch 0
		.amdhsa_float_round_mode_32 0
		.amdhsa_float_round_mode_16_64 0
		.amdhsa_float_denorm_mode_32 3
		.amdhsa_float_denorm_mode_16_64 3
		.amdhsa_dx10_clamp 1
		.amdhsa_ieee_mode 1
		.amdhsa_fp16_overflow 0
		.amdhsa_exception_fp_ieee_invalid_op 0
		.amdhsa_exception_fp_denorm_src 0
		.amdhsa_exception_fp_ieee_div_zero 0
		.amdhsa_exception_fp_ieee_overflow 0
		.amdhsa_exception_fp_ieee_underflow 0
		.amdhsa_exception_fp_ieee_inexact 0
		.amdhsa_exception_int_div_zero 0
	.end_amdhsa_kernel
	.section	.text._ZN2at6native28tensor_kernel_scan_outer_dimIajSt10multipliesIaEEEvPT_PKS4_jjjS4_T1_,"axG",@progbits,_ZN2at6native28tensor_kernel_scan_outer_dimIajSt10multipliesIaEEEvPT_PKS4_jjjS4_T1_,comdat
.Lfunc_end16:
	.size	_ZN2at6native28tensor_kernel_scan_outer_dimIajSt10multipliesIaEEEvPT_PKS4_jjjS4_T1_, .Lfunc_end16-_ZN2at6native28tensor_kernel_scan_outer_dimIajSt10multipliesIaEEEvPT_PKS4_jjjS4_T1_
                                        ; -- End function
	.set _ZN2at6native28tensor_kernel_scan_outer_dimIajSt10multipliesIaEEEvPT_PKS4_jjjS4_T1_.num_vgpr, 8
	.set _ZN2at6native28tensor_kernel_scan_outer_dimIajSt10multipliesIaEEEvPT_PKS4_jjjS4_T1_.num_agpr, 0
	.set _ZN2at6native28tensor_kernel_scan_outer_dimIajSt10multipliesIaEEEvPT_PKS4_jjjS4_T1_.numbered_sgpr, 28
	.set _ZN2at6native28tensor_kernel_scan_outer_dimIajSt10multipliesIaEEEvPT_PKS4_jjjS4_T1_.num_named_barrier, 0
	.set _ZN2at6native28tensor_kernel_scan_outer_dimIajSt10multipliesIaEEEvPT_PKS4_jjjS4_T1_.private_seg_size, 0
	.set _ZN2at6native28tensor_kernel_scan_outer_dimIajSt10multipliesIaEEEvPT_PKS4_jjjS4_T1_.uses_vcc, 1
	.set _ZN2at6native28tensor_kernel_scan_outer_dimIajSt10multipliesIaEEEvPT_PKS4_jjjS4_T1_.uses_flat_scratch, 0
	.set _ZN2at6native28tensor_kernel_scan_outer_dimIajSt10multipliesIaEEEvPT_PKS4_jjjS4_T1_.has_dyn_sized_stack, 0
	.set _ZN2at6native28tensor_kernel_scan_outer_dimIajSt10multipliesIaEEEvPT_PKS4_jjjS4_T1_.has_recursion, 0
	.set _ZN2at6native28tensor_kernel_scan_outer_dimIajSt10multipliesIaEEEvPT_PKS4_jjjS4_T1_.has_indirect_call, 0
	.section	.AMDGPU.csdata,"",@progbits
; Kernel info:
; codeLenInByte = 316
; TotalNumSgprs: 32
; NumVgprs: 8
; ScratchSize: 0
; MemoryBound: 0
; FloatMode: 240
; IeeeMode: 1
; LDSByteSize: 0 bytes/workgroup (compile time only)
; SGPRBlocks: 3
; VGPRBlocks: 1
; NumSGPRsForWavesPerEU: 32
; NumVGPRsForWavesPerEU: 8
; Occupancy: 10
; WaveLimiterHint : 0
; COMPUTE_PGM_RSRC2:SCRATCH_EN: 0
; COMPUTE_PGM_RSRC2:USER_SGPR: 6
; COMPUTE_PGM_RSRC2:TRAP_HANDLER: 0
; COMPUTE_PGM_RSRC2:TGID_X_EN: 1
; COMPUTE_PGM_RSRC2:TGID_Y_EN: 1
; COMPUTE_PGM_RSRC2:TGID_Z_EN: 0
; COMPUTE_PGM_RSRC2:TIDIG_COMP_CNT: 0
	.section	.text._ZN2at6native28tensor_kernel_scan_outer_dimIamSt10multipliesIaEEEvPT_PKS4_jjjS4_T1_,"axG",@progbits,_ZN2at6native28tensor_kernel_scan_outer_dimIamSt10multipliesIaEEEvPT_PKS4_jjjS4_T1_,comdat
	.protected	_ZN2at6native28tensor_kernel_scan_outer_dimIamSt10multipliesIaEEEvPT_PKS4_jjjS4_T1_ ; -- Begin function _ZN2at6native28tensor_kernel_scan_outer_dimIamSt10multipliesIaEEEvPT_PKS4_jjjS4_T1_
	.globl	_ZN2at6native28tensor_kernel_scan_outer_dimIamSt10multipliesIaEEEvPT_PKS4_jjjS4_T1_
	.p2align	8
	.type	_ZN2at6native28tensor_kernel_scan_outer_dimIamSt10multipliesIaEEEvPT_PKS4_jjjS4_T1_,@function
_ZN2at6native28tensor_kernel_scan_outer_dimIamSt10multipliesIaEEEvPT_PKS4_jjjS4_T1_: ; @_ZN2at6native28tensor_kernel_scan_outer_dimIamSt10multipliesIaEEEvPT_PKS4_jjjS4_T1_
; %bb.0:
	s_load_dwordx4 s[8:11], s[4:5], 0x10
	s_waitcnt lgkmcnt(0)
	s_cmp_ge_u32 s6, s8
	s_cbranch_scc1 .LBB17_9
; %bb.1:
	s_load_dword s0, s[4:5], 0x2c
	s_load_dwordx4 s[12:15], s[4:5], 0x0
	s_load_dword s22, s[4:5], 0x20
	s_add_u32 s16, s4, 32
	s_addc_u32 s17, s5, 0
	s_waitcnt lgkmcnt(0)
	s_and_b32 s23, s0, 0xffff
	s_cmp_lg_u32 s10, 0
	s_mul_i32 s7, s7, s23
	s_cselect_b64 s[2:3], -1, 0
	v_add_u32_e32 v0, s7, v0
	v_cndmask_b32_e64 v1, 0, 1, s[2:3]
	v_cmp_gt_u32_e64 s[0:1], s9, v0
	s_mov_b32 s7, s9
	s_mul_hi_u32 s24, s10, s9
	s_mul_i32 s25, s10, s9
	v_cmp_ne_u32_e64 s[2:3], 1, v1
	s_branch .LBB17_3
.LBB17_2:                               ;   in Loop: Header=BB17_3 Depth=1
	s_or_b64 exec, exec, s[18:19]
	s_add_i32 s6, s6, s22
	s_cmp_ge_u32 s6, s8
	s_cbranch_scc1 .LBB17_9
.LBB17_3:                               ; =>This Loop Header: Depth=1
                                        ;     Child Loop BB17_6 Depth 2
                                        ;       Child Loop BB17_8 Depth 3
	s_and_saveexec_b64 s[18:19], s[0:1]
	s_cbranch_execz .LBB17_2
; %bb.4:                                ;   in Loop: Header=BB17_3 Depth=1
	s_load_dword s28, s[16:17], 0x4
	s_mul_i32 s4, s24, s6
	s_mul_hi_u32 s5, s25, s6
	s_mul_i32 s26, s25, s6
	s_add_i32 s27, s5, s4
	s_waitcnt lgkmcnt(0)
	s_mul_i32 s28, s28, s23
	s_mov_b64 s[20:21], 0
	v_mov_b32_e32 v1, v0
	s_branch .LBB17_6
.LBB17_5:                               ;   in Loop: Header=BB17_6 Depth=2
	v_add_u32_e32 v1, s28, v1
	v_cmp_le_u32_e32 vcc, s9, v1
	s_or_b64 s[20:21], vcc, s[20:21]
	s_andn2_b64 exec, exec, s[20:21]
	s_cbranch_execz .LBB17_2
.LBB17_6:                               ;   Parent Loop BB17_3 Depth=1
                                        ; =>  This Loop Header: Depth=2
                                        ;       Child Loop BB17_8 Depth 3
	s_and_b64 vcc, exec, s[2:3]
	s_cbranch_vccnz .LBB17_5
; %bb.7:                                ;   in Loop: Header=BB17_6 Depth=2
	v_mov_b32_e32 v3, s27
	v_add_co_u32_e32 v2, vcc, s26, v1
	v_addc_co_u32_e32 v3, vcc, 0, v3, vcc
	v_mov_b32_e32 v4, s11
	s_mov_b32 s29, s10
.LBB17_8:                               ;   Parent Loop BB17_3 Depth=1
                                        ;     Parent Loop BB17_6 Depth=2
                                        ; =>    This Inner Loop Header: Depth=3
	v_mov_b32_e32 v6, s15
	v_add_co_u32_e32 v5, vcc, s14, v2
	v_addc_co_u32_e32 v6, vcc, v6, v3, vcc
	global_load_ubyte v7, v[5:6], off
	v_mov_b32_e32 v6, s13
	v_add_co_u32_e32 v5, vcc, s12, v2
	s_add_i32 s29, s29, -1
	v_add_co_u32_e64 v2, s[4:5], s7, v2
	v_addc_co_u32_e32 v6, vcc, v6, v3, vcc
	v_addc_co_u32_e64 v3, vcc, 0, v3, s[4:5]
	s_cmp_eq_u32 s29, 0
	s_waitcnt vmcnt(0)
	v_mul_lo_u16_e32 v4, v7, v4
	global_store_byte v[5:6], v4, off
	s_cbranch_scc0 .LBB17_8
	s_branch .LBB17_5
.LBB17_9:
	s_endpgm
	.section	.rodata,"a",@progbits
	.p2align	6, 0x0
	.amdhsa_kernel _ZN2at6native28tensor_kernel_scan_outer_dimIamSt10multipliesIaEEEvPT_PKS4_jjjS4_T1_
		.amdhsa_group_segment_fixed_size 0
		.amdhsa_private_segment_fixed_size 0
		.amdhsa_kernarg_size 288
		.amdhsa_user_sgpr_count 6
		.amdhsa_user_sgpr_private_segment_buffer 1
		.amdhsa_user_sgpr_dispatch_ptr 0
		.amdhsa_user_sgpr_queue_ptr 0
		.amdhsa_user_sgpr_kernarg_segment_ptr 1
		.amdhsa_user_sgpr_dispatch_id 0
		.amdhsa_user_sgpr_flat_scratch_init 0
		.amdhsa_user_sgpr_private_segment_size 0
		.amdhsa_uses_dynamic_stack 0
		.amdhsa_system_sgpr_private_segment_wavefront_offset 0
		.amdhsa_system_sgpr_workgroup_id_x 1
		.amdhsa_system_sgpr_workgroup_id_y 1
		.amdhsa_system_sgpr_workgroup_id_z 0
		.amdhsa_system_sgpr_workgroup_info 0
		.amdhsa_system_vgpr_workitem_id 0
		.amdhsa_next_free_vgpr 8
		.amdhsa_next_free_sgpr 30
		.amdhsa_reserve_vcc 1
		.amdhsa_reserve_flat_scratch 0
		.amdhsa_float_round_mode_32 0
		.amdhsa_float_round_mode_16_64 0
		.amdhsa_float_denorm_mode_32 3
		.amdhsa_float_denorm_mode_16_64 3
		.amdhsa_dx10_clamp 1
		.amdhsa_ieee_mode 1
		.amdhsa_fp16_overflow 0
		.amdhsa_exception_fp_ieee_invalid_op 0
		.amdhsa_exception_fp_denorm_src 0
		.amdhsa_exception_fp_ieee_div_zero 0
		.amdhsa_exception_fp_ieee_overflow 0
		.amdhsa_exception_fp_ieee_underflow 0
		.amdhsa_exception_fp_ieee_inexact 0
		.amdhsa_exception_int_div_zero 0
	.end_amdhsa_kernel
	.section	.text._ZN2at6native28tensor_kernel_scan_outer_dimIamSt10multipliesIaEEEvPT_PKS4_jjjS4_T1_,"axG",@progbits,_ZN2at6native28tensor_kernel_scan_outer_dimIamSt10multipliesIaEEEvPT_PKS4_jjjS4_T1_,comdat
.Lfunc_end17:
	.size	_ZN2at6native28tensor_kernel_scan_outer_dimIamSt10multipliesIaEEEvPT_PKS4_jjjS4_T1_, .Lfunc_end17-_ZN2at6native28tensor_kernel_scan_outer_dimIamSt10multipliesIaEEEvPT_PKS4_jjjS4_T1_
                                        ; -- End function
	.set _ZN2at6native28tensor_kernel_scan_outer_dimIamSt10multipliesIaEEEvPT_PKS4_jjjS4_T1_.num_vgpr, 8
	.set _ZN2at6native28tensor_kernel_scan_outer_dimIamSt10multipliesIaEEEvPT_PKS4_jjjS4_T1_.num_agpr, 0
	.set _ZN2at6native28tensor_kernel_scan_outer_dimIamSt10multipliesIaEEEvPT_PKS4_jjjS4_T1_.numbered_sgpr, 30
	.set _ZN2at6native28tensor_kernel_scan_outer_dimIamSt10multipliesIaEEEvPT_PKS4_jjjS4_T1_.num_named_barrier, 0
	.set _ZN2at6native28tensor_kernel_scan_outer_dimIamSt10multipliesIaEEEvPT_PKS4_jjjS4_T1_.private_seg_size, 0
	.set _ZN2at6native28tensor_kernel_scan_outer_dimIamSt10multipliesIaEEEvPT_PKS4_jjjS4_T1_.uses_vcc, 1
	.set _ZN2at6native28tensor_kernel_scan_outer_dimIamSt10multipliesIaEEEvPT_PKS4_jjjS4_T1_.uses_flat_scratch, 0
	.set _ZN2at6native28tensor_kernel_scan_outer_dimIamSt10multipliesIaEEEvPT_PKS4_jjjS4_T1_.has_dyn_sized_stack, 0
	.set _ZN2at6native28tensor_kernel_scan_outer_dimIamSt10multipliesIaEEEvPT_PKS4_jjjS4_T1_.has_recursion, 0
	.set _ZN2at6native28tensor_kernel_scan_outer_dimIamSt10multipliesIaEEEvPT_PKS4_jjjS4_T1_.has_indirect_call, 0
	.section	.AMDGPU.csdata,"",@progbits
; Kernel info:
; codeLenInByte = 320
; TotalNumSgprs: 34
; NumVgprs: 8
; ScratchSize: 0
; MemoryBound: 0
; FloatMode: 240
; IeeeMode: 1
; LDSByteSize: 0 bytes/workgroup (compile time only)
; SGPRBlocks: 4
; VGPRBlocks: 1
; NumSGPRsForWavesPerEU: 34
; NumVGPRsForWavesPerEU: 8
; Occupancy: 10
; WaveLimiterHint : 0
; COMPUTE_PGM_RSRC2:SCRATCH_EN: 0
; COMPUTE_PGM_RSRC2:USER_SGPR: 6
; COMPUTE_PGM_RSRC2:TRAP_HANDLER: 0
; COMPUTE_PGM_RSRC2:TGID_X_EN: 1
; COMPUTE_PGM_RSRC2:TGID_Y_EN: 1
; COMPUTE_PGM_RSRC2:TGID_Z_EN: 0
; COMPUTE_PGM_RSRC2:TIDIG_COMP_CNT: 0
	.section	.text._ZN7rocprim17ROCPRIM_304000_NS6detail31init_lookback_scan_state_kernelINS1_19lookback_scan_stateIiLb1ELb1EEEEEvT_jjPNS5_10value_typeE,"axG",@progbits,_ZN7rocprim17ROCPRIM_304000_NS6detail31init_lookback_scan_state_kernelINS1_19lookback_scan_stateIiLb1ELb1EEEEEvT_jjPNS5_10value_typeE,comdat
	.protected	_ZN7rocprim17ROCPRIM_304000_NS6detail31init_lookback_scan_state_kernelINS1_19lookback_scan_stateIiLb1ELb1EEEEEvT_jjPNS5_10value_typeE ; -- Begin function _ZN7rocprim17ROCPRIM_304000_NS6detail31init_lookback_scan_state_kernelINS1_19lookback_scan_stateIiLb1ELb1EEEEEvT_jjPNS5_10value_typeE
	.globl	_ZN7rocprim17ROCPRIM_304000_NS6detail31init_lookback_scan_state_kernelINS1_19lookback_scan_stateIiLb1ELb1EEEEEvT_jjPNS5_10value_typeE
	.p2align	8
	.type	_ZN7rocprim17ROCPRIM_304000_NS6detail31init_lookback_scan_state_kernelINS1_19lookback_scan_stateIiLb1ELb1EEEEEvT_jjPNS5_10value_typeE,@function
_ZN7rocprim17ROCPRIM_304000_NS6detail31init_lookback_scan_state_kernelINS1_19lookback_scan_stateIiLb1ELb1EEEEEvT_jjPNS5_10value_typeE: ; @_ZN7rocprim17ROCPRIM_304000_NS6detail31init_lookback_scan_state_kernelINS1_19lookback_scan_stateIiLb1ELb1EEEEEvT_jjPNS5_10value_typeE
; %bb.0:
	s_load_dword s7, s[4:5], 0x24
	s_load_dwordx2 s[8:9], s[4:5], 0x10
	s_load_dwordx4 s[0:3], s[4:5], 0x0
	s_waitcnt lgkmcnt(0)
	s_and_b32 s4, s7, 0xffff
	s_mul_i32 s6, s6, s4
	s_cmp_eq_u64 s[8:9], 0
	v_add_u32_e32 v0, s6, v0
	s_cbranch_scc1 .LBB18_9
; %bb.1:
	s_cmp_lt_u32 s3, s2
	s_cselect_b32 s4, s3, 0
	s_mov_b32 s7, 0
	v_cmp_eq_u32_e32 vcc, s4, v0
	s_and_saveexec_b64 s[4:5], vcc
	s_cbranch_execz .LBB18_8
; %bb.2:
	s_add_i32 s6, s3, 64
	s_lshl_b64 s[6:7], s[6:7], 3
	s_add_u32 s6, s0, s6
	s_addc_u32 s7, s1, s7
	v_mov_b32_e32 v1, 0
	global_load_dwordx2 v[3:4], v1, s[6:7] glc
	s_waitcnt vmcnt(0)
	v_and_b32_e32 v2, 0xff, v4
	v_cmp_ne_u64_e32 vcc, 0, v[1:2]
	s_cbranch_vccnz .LBB18_7
; %bb.3:
	s_mov_b32 s3, 1
.LBB18_4:                               ; =>This Loop Header: Depth=1
                                        ;     Child Loop BB18_5 Depth 2
	s_mov_b32 s10, s3
.LBB18_5:                               ;   Parent Loop BB18_4 Depth=1
                                        ; =>  This Inner Loop Header: Depth=2
	s_add_i32 s10, s10, -1
	s_cmp_eq_u32 s10, 0
	s_sleep 1
	s_cbranch_scc0 .LBB18_5
; %bb.6:                                ;   in Loop: Header=BB18_4 Depth=1
	global_load_dwordx2 v[3:4], v1, s[6:7] glc
	s_cmp_lt_u32 s3, 32
	s_cselect_b64 s[10:11], -1, 0
	s_cmp_lg_u64 s[10:11], 0
	s_addc_u32 s3, s3, 0
	s_waitcnt vmcnt(0)
	v_and_b32_e32 v2, 0xff, v4
	v_cmp_ne_u64_e32 vcc, 0, v[1:2]
	s_cbranch_vccz .LBB18_4
.LBB18_7:
	v_mov_b32_e32 v1, 0
	global_store_dword v1, v3, s[8:9]
.LBB18_8:
	s_or_b64 exec, exec, s[4:5]
.LBB18_9:
	v_cmp_gt_u32_e32 vcc, s2, v0
	s_and_saveexec_b64 s[2:3], vcc
	s_cbranch_execnz .LBB18_12
; %bb.10:
	s_or_b64 exec, exec, s[2:3]
	v_cmp_gt_u32_e32 vcc, 64, v0
	s_and_saveexec_b64 s[2:3], vcc
	s_cbranch_execnz .LBB18_13
.LBB18_11:
	s_endpgm
.LBB18_12:
	v_add_u32_e32 v1, 64, v0
	v_mov_b32_e32 v2, 0
	v_lshlrev_b64 v[3:4], 3, v[1:2]
	v_mov_b32_e32 v1, s1
	v_add_co_u32_e32 v3, vcc, s0, v3
	v_addc_co_u32_e32 v4, vcc, v1, v4, vcc
	v_mov_b32_e32 v1, v2
	global_store_dwordx2 v[3:4], v[1:2], off
	s_or_b64 exec, exec, s[2:3]
	v_cmp_gt_u32_e32 vcc, 64, v0
	s_and_saveexec_b64 s[2:3], vcc
	s_cbranch_execz .LBB18_11
.LBB18_13:
	v_mov_b32_e32 v1, 0
	v_lshlrev_b64 v[2:3], 3, v[0:1]
	v_mov_b32_e32 v0, s1
	v_add_co_u32_e32 v2, vcc, s0, v2
	v_addc_co_u32_e32 v3, vcc, v0, v3, vcc
	v_mov_b32_e32 v5, 0xff
	v_mov_b32_e32 v4, v1
	global_store_dwordx2 v[2:3], v[4:5], off
	s_endpgm
	.section	.rodata,"a",@progbits
	.p2align	6, 0x0
	.amdhsa_kernel _ZN7rocprim17ROCPRIM_304000_NS6detail31init_lookback_scan_state_kernelINS1_19lookback_scan_stateIiLb1ELb1EEEEEvT_jjPNS5_10value_typeE
		.amdhsa_group_segment_fixed_size 0
		.amdhsa_private_segment_fixed_size 0
		.amdhsa_kernarg_size 280
		.amdhsa_user_sgpr_count 6
		.amdhsa_user_sgpr_private_segment_buffer 1
		.amdhsa_user_sgpr_dispatch_ptr 0
		.amdhsa_user_sgpr_queue_ptr 0
		.amdhsa_user_sgpr_kernarg_segment_ptr 1
		.amdhsa_user_sgpr_dispatch_id 0
		.amdhsa_user_sgpr_flat_scratch_init 0
		.amdhsa_user_sgpr_private_segment_size 0
		.amdhsa_uses_dynamic_stack 0
		.amdhsa_system_sgpr_private_segment_wavefront_offset 0
		.amdhsa_system_sgpr_workgroup_id_x 1
		.amdhsa_system_sgpr_workgroup_id_y 0
		.amdhsa_system_sgpr_workgroup_id_z 0
		.amdhsa_system_sgpr_workgroup_info 0
		.amdhsa_system_vgpr_workitem_id 0
		.amdhsa_next_free_vgpr 6
		.amdhsa_next_free_sgpr 12
		.amdhsa_reserve_vcc 1
		.amdhsa_reserve_flat_scratch 0
		.amdhsa_float_round_mode_32 0
		.amdhsa_float_round_mode_16_64 0
		.amdhsa_float_denorm_mode_32 3
		.amdhsa_float_denorm_mode_16_64 3
		.amdhsa_dx10_clamp 1
		.amdhsa_ieee_mode 1
		.amdhsa_fp16_overflow 0
		.amdhsa_exception_fp_ieee_invalid_op 0
		.amdhsa_exception_fp_denorm_src 0
		.amdhsa_exception_fp_ieee_div_zero 0
		.amdhsa_exception_fp_ieee_overflow 0
		.amdhsa_exception_fp_ieee_underflow 0
		.amdhsa_exception_fp_ieee_inexact 0
		.amdhsa_exception_int_div_zero 0
	.end_amdhsa_kernel
	.section	.text._ZN7rocprim17ROCPRIM_304000_NS6detail31init_lookback_scan_state_kernelINS1_19lookback_scan_stateIiLb1ELb1EEEEEvT_jjPNS5_10value_typeE,"axG",@progbits,_ZN7rocprim17ROCPRIM_304000_NS6detail31init_lookback_scan_state_kernelINS1_19lookback_scan_stateIiLb1ELb1EEEEEvT_jjPNS5_10value_typeE,comdat
.Lfunc_end18:
	.size	_ZN7rocprim17ROCPRIM_304000_NS6detail31init_lookback_scan_state_kernelINS1_19lookback_scan_stateIiLb1ELb1EEEEEvT_jjPNS5_10value_typeE, .Lfunc_end18-_ZN7rocprim17ROCPRIM_304000_NS6detail31init_lookback_scan_state_kernelINS1_19lookback_scan_stateIiLb1ELb1EEEEEvT_jjPNS5_10value_typeE
                                        ; -- End function
	.set _ZN7rocprim17ROCPRIM_304000_NS6detail31init_lookback_scan_state_kernelINS1_19lookback_scan_stateIiLb1ELb1EEEEEvT_jjPNS5_10value_typeE.num_vgpr, 6
	.set _ZN7rocprim17ROCPRIM_304000_NS6detail31init_lookback_scan_state_kernelINS1_19lookback_scan_stateIiLb1ELb1EEEEEvT_jjPNS5_10value_typeE.num_agpr, 0
	.set _ZN7rocprim17ROCPRIM_304000_NS6detail31init_lookback_scan_state_kernelINS1_19lookback_scan_stateIiLb1ELb1EEEEEvT_jjPNS5_10value_typeE.numbered_sgpr, 12
	.set _ZN7rocprim17ROCPRIM_304000_NS6detail31init_lookback_scan_state_kernelINS1_19lookback_scan_stateIiLb1ELb1EEEEEvT_jjPNS5_10value_typeE.num_named_barrier, 0
	.set _ZN7rocprim17ROCPRIM_304000_NS6detail31init_lookback_scan_state_kernelINS1_19lookback_scan_stateIiLb1ELb1EEEEEvT_jjPNS5_10value_typeE.private_seg_size, 0
	.set _ZN7rocprim17ROCPRIM_304000_NS6detail31init_lookback_scan_state_kernelINS1_19lookback_scan_stateIiLb1ELb1EEEEEvT_jjPNS5_10value_typeE.uses_vcc, 1
	.set _ZN7rocprim17ROCPRIM_304000_NS6detail31init_lookback_scan_state_kernelINS1_19lookback_scan_stateIiLb1ELb1EEEEEvT_jjPNS5_10value_typeE.uses_flat_scratch, 0
	.set _ZN7rocprim17ROCPRIM_304000_NS6detail31init_lookback_scan_state_kernelINS1_19lookback_scan_stateIiLb1ELb1EEEEEvT_jjPNS5_10value_typeE.has_dyn_sized_stack, 0
	.set _ZN7rocprim17ROCPRIM_304000_NS6detail31init_lookback_scan_state_kernelINS1_19lookback_scan_stateIiLb1ELb1EEEEEvT_jjPNS5_10value_typeE.has_recursion, 0
	.set _ZN7rocprim17ROCPRIM_304000_NS6detail31init_lookback_scan_state_kernelINS1_19lookback_scan_stateIiLb1ELb1EEEEEvT_jjPNS5_10value_typeE.has_indirect_call, 0
	.section	.AMDGPU.csdata,"",@progbits
; Kernel info:
; codeLenInByte = 344
; TotalNumSgprs: 16
; NumVgprs: 6
; ScratchSize: 0
; MemoryBound: 0
; FloatMode: 240
; IeeeMode: 1
; LDSByteSize: 0 bytes/workgroup (compile time only)
; SGPRBlocks: 1
; VGPRBlocks: 1
; NumSGPRsForWavesPerEU: 16
; NumVGPRsForWavesPerEU: 6
; Occupancy: 10
; WaveLimiterHint : 0
; COMPUTE_PGM_RSRC2:SCRATCH_EN: 0
; COMPUTE_PGM_RSRC2:USER_SGPR: 6
; COMPUTE_PGM_RSRC2:TRAP_HANDLER: 0
; COMPUTE_PGM_RSRC2:TGID_X_EN: 1
; COMPUTE_PGM_RSRC2:TGID_Y_EN: 0
; COMPUTE_PGM_RSRC2:TGID_Z_EN: 0
; COMPUTE_PGM_RSRC2:TIDIG_COMP_CNT: 0
	.section	.text._ZN7rocprim17ROCPRIM_304000_NS6detail31init_lookback_scan_state_kernelINS1_19lookback_scan_stateIiLb0ELb1EEEEEvT_jjPNS5_10value_typeE,"axG",@progbits,_ZN7rocprim17ROCPRIM_304000_NS6detail31init_lookback_scan_state_kernelINS1_19lookback_scan_stateIiLb0ELb1EEEEEvT_jjPNS5_10value_typeE,comdat
	.protected	_ZN7rocprim17ROCPRIM_304000_NS6detail31init_lookback_scan_state_kernelINS1_19lookback_scan_stateIiLb0ELb1EEEEEvT_jjPNS5_10value_typeE ; -- Begin function _ZN7rocprim17ROCPRIM_304000_NS6detail31init_lookback_scan_state_kernelINS1_19lookback_scan_stateIiLb0ELb1EEEEEvT_jjPNS5_10value_typeE
	.globl	_ZN7rocprim17ROCPRIM_304000_NS6detail31init_lookback_scan_state_kernelINS1_19lookback_scan_stateIiLb0ELb1EEEEEvT_jjPNS5_10value_typeE
	.p2align	8
	.type	_ZN7rocprim17ROCPRIM_304000_NS6detail31init_lookback_scan_state_kernelINS1_19lookback_scan_stateIiLb0ELb1EEEEEvT_jjPNS5_10value_typeE,@function
_ZN7rocprim17ROCPRIM_304000_NS6detail31init_lookback_scan_state_kernelINS1_19lookback_scan_stateIiLb0ELb1EEEEEvT_jjPNS5_10value_typeE: ; @_ZN7rocprim17ROCPRIM_304000_NS6detail31init_lookback_scan_state_kernelINS1_19lookback_scan_stateIiLb0ELb1EEEEEvT_jjPNS5_10value_typeE
; %bb.0:
	s_load_dword s7, s[4:5], 0x24
	s_load_dwordx2 s[8:9], s[4:5], 0x10
	s_load_dwordx4 s[0:3], s[4:5], 0x0
	s_waitcnt lgkmcnt(0)
	s_and_b32 s4, s7, 0xffff
	s_mul_i32 s6, s6, s4
	s_cmp_eq_u64 s[8:9], 0
	v_add_u32_e32 v0, s6, v0
	s_cbranch_scc1 .LBB19_6
; %bb.1:
	s_cmp_lt_u32 s3, s2
	s_cselect_b32 s4, s3, 0
	s_mov_b32 s7, 0
	v_cmp_eq_u32_e32 vcc, s4, v0
	s_and_saveexec_b64 s[4:5], vcc
	s_cbranch_execz .LBB19_5
; %bb.2:
	s_add_i32 s6, s3, 64
	s_lshl_b64 s[6:7], s[6:7], 3
	s_add_u32 s6, s0, s6
	s_addc_u32 s7, s1, s7
	v_mov_b32_e32 v3, 0
	global_load_dwordx2 v[1:2], v3, s[6:7] glc
	s_waitcnt vmcnt(0)
	v_and_b32_e32 v4, 0xff, v2
	v_cmp_ne_u64_e32 vcc, 0, v[3:4]
	s_cbranch_vccnz .LBB19_4
.LBB19_3:                               ; =>This Inner Loop Header: Depth=1
	global_load_dwordx2 v[1:2], v3, s[6:7] glc
	s_waitcnt vmcnt(0)
	v_and_b32_e32 v4, 0xff, v2
	v_cmp_eq_u64_e32 vcc, 0, v[3:4]
	s_cbranch_vccnz .LBB19_3
.LBB19_4:
	v_mov_b32_e32 v2, 0
	global_store_dword v2, v1, s[8:9]
.LBB19_5:
	s_or_b64 exec, exec, s[4:5]
.LBB19_6:
	v_cmp_gt_u32_e32 vcc, s2, v0
	s_and_saveexec_b64 s[2:3], vcc
	s_cbranch_execnz .LBB19_9
; %bb.7:
	s_or_b64 exec, exec, s[2:3]
	v_cmp_gt_u32_e32 vcc, 64, v0
	s_and_saveexec_b64 s[2:3], vcc
	s_cbranch_execnz .LBB19_10
.LBB19_8:
	s_endpgm
.LBB19_9:
	v_add_u32_e32 v1, 64, v0
	v_mov_b32_e32 v2, 0
	v_lshlrev_b64 v[3:4], 3, v[1:2]
	v_mov_b32_e32 v1, s1
	v_add_co_u32_e32 v3, vcc, s0, v3
	v_addc_co_u32_e32 v4, vcc, v1, v4, vcc
	v_mov_b32_e32 v1, v2
	global_store_dwordx2 v[3:4], v[1:2], off
	s_or_b64 exec, exec, s[2:3]
	v_cmp_gt_u32_e32 vcc, 64, v0
	s_and_saveexec_b64 s[2:3], vcc
	s_cbranch_execz .LBB19_8
.LBB19_10:
	v_mov_b32_e32 v1, 0
	v_lshlrev_b64 v[2:3], 3, v[0:1]
	v_mov_b32_e32 v0, s1
	v_add_co_u32_e32 v2, vcc, s0, v2
	v_addc_co_u32_e32 v3, vcc, v0, v3, vcc
	v_mov_b32_e32 v5, 0xff
	v_mov_b32_e32 v4, v1
	global_store_dwordx2 v[2:3], v[4:5], off
	s_endpgm
	.section	.rodata,"a",@progbits
	.p2align	6, 0x0
	.amdhsa_kernel _ZN7rocprim17ROCPRIM_304000_NS6detail31init_lookback_scan_state_kernelINS1_19lookback_scan_stateIiLb0ELb1EEEEEvT_jjPNS5_10value_typeE
		.amdhsa_group_segment_fixed_size 0
		.amdhsa_private_segment_fixed_size 0
		.amdhsa_kernarg_size 280
		.amdhsa_user_sgpr_count 6
		.amdhsa_user_sgpr_private_segment_buffer 1
		.amdhsa_user_sgpr_dispatch_ptr 0
		.amdhsa_user_sgpr_queue_ptr 0
		.amdhsa_user_sgpr_kernarg_segment_ptr 1
		.amdhsa_user_sgpr_dispatch_id 0
		.amdhsa_user_sgpr_flat_scratch_init 0
		.amdhsa_user_sgpr_private_segment_size 0
		.amdhsa_uses_dynamic_stack 0
		.amdhsa_system_sgpr_private_segment_wavefront_offset 0
		.amdhsa_system_sgpr_workgroup_id_x 1
		.amdhsa_system_sgpr_workgroup_id_y 0
		.amdhsa_system_sgpr_workgroup_id_z 0
		.amdhsa_system_sgpr_workgroup_info 0
		.amdhsa_system_vgpr_workitem_id 0
		.amdhsa_next_free_vgpr 6
		.amdhsa_next_free_sgpr 10
		.amdhsa_reserve_vcc 1
		.amdhsa_reserve_flat_scratch 0
		.amdhsa_float_round_mode_32 0
		.amdhsa_float_round_mode_16_64 0
		.amdhsa_float_denorm_mode_32 3
		.amdhsa_float_denorm_mode_16_64 3
		.amdhsa_dx10_clamp 1
		.amdhsa_ieee_mode 1
		.amdhsa_fp16_overflow 0
		.amdhsa_exception_fp_ieee_invalid_op 0
		.amdhsa_exception_fp_denorm_src 0
		.amdhsa_exception_fp_ieee_div_zero 0
		.amdhsa_exception_fp_ieee_overflow 0
		.amdhsa_exception_fp_ieee_underflow 0
		.amdhsa_exception_fp_ieee_inexact 0
		.amdhsa_exception_int_div_zero 0
	.end_amdhsa_kernel
	.section	.text._ZN7rocprim17ROCPRIM_304000_NS6detail31init_lookback_scan_state_kernelINS1_19lookback_scan_stateIiLb0ELb1EEEEEvT_jjPNS5_10value_typeE,"axG",@progbits,_ZN7rocprim17ROCPRIM_304000_NS6detail31init_lookback_scan_state_kernelINS1_19lookback_scan_stateIiLb0ELb1EEEEEvT_jjPNS5_10value_typeE,comdat
.Lfunc_end19:
	.size	_ZN7rocprim17ROCPRIM_304000_NS6detail31init_lookback_scan_state_kernelINS1_19lookback_scan_stateIiLb0ELb1EEEEEvT_jjPNS5_10value_typeE, .Lfunc_end19-_ZN7rocprim17ROCPRIM_304000_NS6detail31init_lookback_scan_state_kernelINS1_19lookback_scan_stateIiLb0ELb1EEEEEvT_jjPNS5_10value_typeE
                                        ; -- End function
	.set _ZN7rocprim17ROCPRIM_304000_NS6detail31init_lookback_scan_state_kernelINS1_19lookback_scan_stateIiLb0ELb1EEEEEvT_jjPNS5_10value_typeE.num_vgpr, 6
	.set _ZN7rocprim17ROCPRIM_304000_NS6detail31init_lookback_scan_state_kernelINS1_19lookback_scan_stateIiLb0ELb1EEEEEvT_jjPNS5_10value_typeE.num_agpr, 0
	.set _ZN7rocprim17ROCPRIM_304000_NS6detail31init_lookback_scan_state_kernelINS1_19lookback_scan_stateIiLb0ELb1EEEEEvT_jjPNS5_10value_typeE.numbered_sgpr, 10
	.set _ZN7rocprim17ROCPRIM_304000_NS6detail31init_lookback_scan_state_kernelINS1_19lookback_scan_stateIiLb0ELb1EEEEEvT_jjPNS5_10value_typeE.num_named_barrier, 0
	.set _ZN7rocprim17ROCPRIM_304000_NS6detail31init_lookback_scan_state_kernelINS1_19lookback_scan_stateIiLb0ELb1EEEEEvT_jjPNS5_10value_typeE.private_seg_size, 0
	.set _ZN7rocprim17ROCPRIM_304000_NS6detail31init_lookback_scan_state_kernelINS1_19lookback_scan_stateIiLb0ELb1EEEEEvT_jjPNS5_10value_typeE.uses_vcc, 1
	.set _ZN7rocprim17ROCPRIM_304000_NS6detail31init_lookback_scan_state_kernelINS1_19lookback_scan_stateIiLb0ELb1EEEEEvT_jjPNS5_10value_typeE.uses_flat_scratch, 0
	.set _ZN7rocprim17ROCPRIM_304000_NS6detail31init_lookback_scan_state_kernelINS1_19lookback_scan_stateIiLb0ELb1EEEEEvT_jjPNS5_10value_typeE.has_dyn_sized_stack, 0
	.set _ZN7rocprim17ROCPRIM_304000_NS6detail31init_lookback_scan_state_kernelINS1_19lookback_scan_stateIiLb0ELb1EEEEEvT_jjPNS5_10value_typeE.has_recursion, 0
	.set _ZN7rocprim17ROCPRIM_304000_NS6detail31init_lookback_scan_state_kernelINS1_19lookback_scan_stateIiLb0ELb1EEEEEvT_jjPNS5_10value_typeE.has_indirect_call, 0
	.section	.AMDGPU.csdata,"",@progbits
; Kernel info:
; codeLenInByte = 304
; TotalNumSgprs: 14
; NumVgprs: 6
; ScratchSize: 0
; MemoryBound: 0
; FloatMode: 240
; IeeeMode: 1
; LDSByteSize: 0 bytes/workgroup (compile time only)
; SGPRBlocks: 1
; VGPRBlocks: 1
; NumSGPRsForWavesPerEU: 14
; NumVGPRsForWavesPerEU: 6
; Occupancy: 10
; WaveLimiterHint : 0
; COMPUTE_PGM_RSRC2:SCRATCH_EN: 0
; COMPUTE_PGM_RSRC2:USER_SGPR: 6
; COMPUTE_PGM_RSRC2:TRAP_HANDLER: 0
; COMPUTE_PGM_RSRC2:TGID_X_EN: 1
; COMPUTE_PGM_RSRC2:TGID_Y_EN: 0
; COMPUTE_PGM_RSRC2:TGID_Z_EN: 0
; COMPUTE_PGM_RSRC2:TIDIG_COMP_CNT: 0
	.section	.text._ZN7rocprim17ROCPRIM_304000_NS6detail20lookback_scan_kernelILNS1_25lookback_scan_determinismE0ELb0ENS1_19wrapped_scan_configINS0_14default_configEiEEPKiPiSt10multipliesIiEiiNS1_19lookback_scan_stateIiLb1ELb1EEEEEvT2_T3_mT5_T4_T7_jPT6_SK_bb,"axG",@progbits,_ZN7rocprim17ROCPRIM_304000_NS6detail20lookback_scan_kernelILNS1_25lookback_scan_determinismE0ELb0ENS1_19wrapped_scan_configINS0_14default_configEiEEPKiPiSt10multipliesIiEiiNS1_19lookback_scan_stateIiLb1ELb1EEEEEvT2_T3_mT5_T4_T7_jPT6_SK_bb,comdat
	.protected	_ZN7rocprim17ROCPRIM_304000_NS6detail20lookback_scan_kernelILNS1_25lookback_scan_determinismE0ELb0ENS1_19wrapped_scan_configINS0_14default_configEiEEPKiPiSt10multipliesIiEiiNS1_19lookback_scan_stateIiLb1ELb1EEEEEvT2_T3_mT5_T4_T7_jPT6_SK_bb ; -- Begin function _ZN7rocprim17ROCPRIM_304000_NS6detail20lookback_scan_kernelILNS1_25lookback_scan_determinismE0ELb0ENS1_19wrapped_scan_configINS0_14default_configEiEEPKiPiSt10multipliesIiEiiNS1_19lookback_scan_stateIiLb1ELb1EEEEEvT2_T3_mT5_T4_T7_jPT6_SK_bb
	.globl	_ZN7rocprim17ROCPRIM_304000_NS6detail20lookback_scan_kernelILNS1_25lookback_scan_determinismE0ELb0ENS1_19wrapped_scan_configINS0_14default_configEiEEPKiPiSt10multipliesIiEiiNS1_19lookback_scan_stateIiLb1ELb1EEEEEvT2_T3_mT5_T4_T7_jPT6_SK_bb
	.p2align	8
	.type	_ZN7rocprim17ROCPRIM_304000_NS6detail20lookback_scan_kernelILNS1_25lookback_scan_determinismE0ELb0ENS1_19wrapped_scan_configINS0_14default_configEiEEPKiPiSt10multipliesIiEiiNS1_19lookback_scan_stateIiLb1ELb1EEEEEvT2_T3_mT5_T4_T7_jPT6_SK_bb,@function
_ZN7rocprim17ROCPRIM_304000_NS6detail20lookback_scan_kernelILNS1_25lookback_scan_determinismE0ELb0ENS1_19wrapped_scan_configINS0_14default_configEiEEPKiPiSt10multipliesIiEiiNS1_19lookback_scan_stateIiLb1ELb1EEEEEvT2_T3_mT5_T4_T7_jPT6_SK_bb: ; @_ZN7rocprim17ROCPRIM_304000_NS6detail20lookback_scan_kernelILNS1_25lookback_scan_determinismE0ELb0ENS1_19wrapped_scan_configINS0_14default_configEiEEPKiPiSt10multipliesIiEiiNS1_19lookback_scan_stateIiLb1ELb1EEEEEvT2_T3_mT5_T4_T7_jPT6_SK_bb
; %bb.0:
	s_endpgm
	.section	.rodata,"a",@progbits
	.p2align	6, 0x0
	.amdhsa_kernel _ZN7rocprim17ROCPRIM_304000_NS6detail20lookback_scan_kernelILNS1_25lookback_scan_determinismE0ELb0ENS1_19wrapped_scan_configINS0_14default_configEiEEPKiPiSt10multipliesIiEiiNS1_19lookback_scan_stateIiLb1ELb1EEEEEvT2_T3_mT5_T4_T7_jPT6_SK_bb
		.amdhsa_group_segment_fixed_size 0
		.amdhsa_private_segment_fixed_size 0
		.amdhsa_kernarg_size 68
		.amdhsa_user_sgpr_count 6
		.amdhsa_user_sgpr_private_segment_buffer 1
		.amdhsa_user_sgpr_dispatch_ptr 0
		.amdhsa_user_sgpr_queue_ptr 0
		.amdhsa_user_sgpr_kernarg_segment_ptr 1
		.amdhsa_user_sgpr_dispatch_id 0
		.amdhsa_user_sgpr_flat_scratch_init 0
		.amdhsa_user_sgpr_private_segment_size 0
		.amdhsa_uses_dynamic_stack 0
		.amdhsa_system_sgpr_private_segment_wavefront_offset 0
		.amdhsa_system_sgpr_workgroup_id_x 1
		.amdhsa_system_sgpr_workgroup_id_y 0
		.amdhsa_system_sgpr_workgroup_id_z 0
		.amdhsa_system_sgpr_workgroup_info 0
		.amdhsa_system_vgpr_workitem_id 0
		.amdhsa_next_free_vgpr 1
		.amdhsa_next_free_sgpr 0
		.amdhsa_reserve_vcc 0
		.amdhsa_reserve_flat_scratch 0
		.amdhsa_float_round_mode_32 0
		.amdhsa_float_round_mode_16_64 0
		.amdhsa_float_denorm_mode_32 3
		.amdhsa_float_denorm_mode_16_64 3
		.amdhsa_dx10_clamp 1
		.amdhsa_ieee_mode 1
		.amdhsa_fp16_overflow 0
		.amdhsa_exception_fp_ieee_invalid_op 0
		.amdhsa_exception_fp_denorm_src 0
		.amdhsa_exception_fp_ieee_div_zero 0
		.amdhsa_exception_fp_ieee_overflow 0
		.amdhsa_exception_fp_ieee_underflow 0
		.amdhsa_exception_fp_ieee_inexact 0
		.amdhsa_exception_int_div_zero 0
	.end_amdhsa_kernel
	.section	.text._ZN7rocprim17ROCPRIM_304000_NS6detail20lookback_scan_kernelILNS1_25lookback_scan_determinismE0ELb0ENS1_19wrapped_scan_configINS0_14default_configEiEEPKiPiSt10multipliesIiEiiNS1_19lookback_scan_stateIiLb1ELb1EEEEEvT2_T3_mT5_T4_T7_jPT6_SK_bb,"axG",@progbits,_ZN7rocprim17ROCPRIM_304000_NS6detail20lookback_scan_kernelILNS1_25lookback_scan_determinismE0ELb0ENS1_19wrapped_scan_configINS0_14default_configEiEEPKiPiSt10multipliesIiEiiNS1_19lookback_scan_stateIiLb1ELb1EEEEEvT2_T3_mT5_T4_T7_jPT6_SK_bb,comdat
.Lfunc_end20:
	.size	_ZN7rocprim17ROCPRIM_304000_NS6detail20lookback_scan_kernelILNS1_25lookback_scan_determinismE0ELb0ENS1_19wrapped_scan_configINS0_14default_configEiEEPKiPiSt10multipliesIiEiiNS1_19lookback_scan_stateIiLb1ELb1EEEEEvT2_T3_mT5_T4_T7_jPT6_SK_bb, .Lfunc_end20-_ZN7rocprim17ROCPRIM_304000_NS6detail20lookback_scan_kernelILNS1_25lookback_scan_determinismE0ELb0ENS1_19wrapped_scan_configINS0_14default_configEiEEPKiPiSt10multipliesIiEiiNS1_19lookback_scan_stateIiLb1ELb1EEEEEvT2_T3_mT5_T4_T7_jPT6_SK_bb
                                        ; -- End function
	.set _ZN7rocprim17ROCPRIM_304000_NS6detail20lookback_scan_kernelILNS1_25lookback_scan_determinismE0ELb0ENS1_19wrapped_scan_configINS0_14default_configEiEEPKiPiSt10multipliesIiEiiNS1_19lookback_scan_stateIiLb1ELb1EEEEEvT2_T3_mT5_T4_T7_jPT6_SK_bb.num_vgpr, 0
	.set _ZN7rocprim17ROCPRIM_304000_NS6detail20lookback_scan_kernelILNS1_25lookback_scan_determinismE0ELb0ENS1_19wrapped_scan_configINS0_14default_configEiEEPKiPiSt10multipliesIiEiiNS1_19lookback_scan_stateIiLb1ELb1EEEEEvT2_T3_mT5_T4_T7_jPT6_SK_bb.num_agpr, 0
	.set _ZN7rocprim17ROCPRIM_304000_NS6detail20lookback_scan_kernelILNS1_25lookback_scan_determinismE0ELb0ENS1_19wrapped_scan_configINS0_14default_configEiEEPKiPiSt10multipliesIiEiiNS1_19lookback_scan_stateIiLb1ELb1EEEEEvT2_T3_mT5_T4_T7_jPT6_SK_bb.numbered_sgpr, 0
	.set _ZN7rocprim17ROCPRIM_304000_NS6detail20lookback_scan_kernelILNS1_25lookback_scan_determinismE0ELb0ENS1_19wrapped_scan_configINS0_14default_configEiEEPKiPiSt10multipliesIiEiiNS1_19lookback_scan_stateIiLb1ELb1EEEEEvT2_T3_mT5_T4_T7_jPT6_SK_bb.num_named_barrier, 0
	.set _ZN7rocprim17ROCPRIM_304000_NS6detail20lookback_scan_kernelILNS1_25lookback_scan_determinismE0ELb0ENS1_19wrapped_scan_configINS0_14default_configEiEEPKiPiSt10multipliesIiEiiNS1_19lookback_scan_stateIiLb1ELb1EEEEEvT2_T3_mT5_T4_T7_jPT6_SK_bb.private_seg_size, 0
	.set _ZN7rocprim17ROCPRIM_304000_NS6detail20lookback_scan_kernelILNS1_25lookback_scan_determinismE0ELb0ENS1_19wrapped_scan_configINS0_14default_configEiEEPKiPiSt10multipliesIiEiiNS1_19lookback_scan_stateIiLb1ELb1EEEEEvT2_T3_mT5_T4_T7_jPT6_SK_bb.uses_vcc, 0
	.set _ZN7rocprim17ROCPRIM_304000_NS6detail20lookback_scan_kernelILNS1_25lookback_scan_determinismE0ELb0ENS1_19wrapped_scan_configINS0_14default_configEiEEPKiPiSt10multipliesIiEiiNS1_19lookback_scan_stateIiLb1ELb1EEEEEvT2_T3_mT5_T4_T7_jPT6_SK_bb.uses_flat_scratch, 0
	.set _ZN7rocprim17ROCPRIM_304000_NS6detail20lookback_scan_kernelILNS1_25lookback_scan_determinismE0ELb0ENS1_19wrapped_scan_configINS0_14default_configEiEEPKiPiSt10multipliesIiEiiNS1_19lookback_scan_stateIiLb1ELb1EEEEEvT2_T3_mT5_T4_T7_jPT6_SK_bb.has_dyn_sized_stack, 0
	.set _ZN7rocprim17ROCPRIM_304000_NS6detail20lookback_scan_kernelILNS1_25lookback_scan_determinismE0ELb0ENS1_19wrapped_scan_configINS0_14default_configEiEEPKiPiSt10multipliesIiEiiNS1_19lookback_scan_stateIiLb1ELb1EEEEEvT2_T3_mT5_T4_T7_jPT6_SK_bb.has_recursion, 0
	.set _ZN7rocprim17ROCPRIM_304000_NS6detail20lookback_scan_kernelILNS1_25lookback_scan_determinismE0ELb0ENS1_19wrapped_scan_configINS0_14default_configEiEEPKiPiSt10multipliesIiEiiNS1_19lookback_scan_stateIiLb1ELb1EEEEEvT2_T3_mT5_T4_T7_jPT6_SK_bb.has_indirect_call, 0
	.section	.AMDGPU.csdata,"",@progbits
; Kernel info:
; codeLenInByte = 4
; TotalNumSgprs: 4
; NumVgprs: 0
; ScratchSize: 0
; MemoryBound: 0
; FloatMode: 240
; IeeeMode: 1
; LDSByteSize: 0 bytes/workgroup (compile time only)
; SGPRBlocks: 0
; VGPRBlocks: 0
; NumSGPRsForWavesPerEU: 4
; NumVGPRsForWavesPerEU: 1
; Occupancy: 10
; WaveLimiterHint : 0
; COMPUTE_PGM_RSRC2:SCRATCH_EN: 0
; COMPUTE_PGM_RSRC2:USER_SGPR: 6
; COMPUTE_PGM_RSRC2:TRAP_HANDLER: 0
; COMPUTE_PGM_RSRC2:TGID_X_EN: 1
; COMPUTE_PGM_RSRC2:TGID_Y_EN: 0
; COMPUTE_PGM_RSRC2:TGID_Z_EN: 0
; COMPUTE_PGM_RSRC2:TIDIG_COMP_CNT: 0
	.section	.text._ZN7rocprim17ROCPRIM_304000_NS6detail20lookback_scan_kernelILNS1_25lookback_scan_determinismE0ELb0ENS1_19wrapped_scan_configINS0_14default_configEiEEPKiPiSt10multipliesIiEiiNS1_19lookback_scan_stateIiLb0ELb1EEEEEvT2_T3_mT5_T4_T7_jPT6_SK_bb,"axG",@progbits,_ZN7rocprim17ROCPRIM_304000_NS6detail20lookback_scan_kernelILNS1_25lookback_scan_determinismE0ELb0ENS1_19wrapped_scan_configINS0_14default_configEiEEPKiPiSt10multipliesIiEiiNS1_19lookback_scan_stateIiLb0ELb1EEEEEvT2_T3_mT5_T4_T7_jPT6_SK_bb,comdat
	.protected	_ZN7rocprim17ROCPRIM_304000_NS6detail20lookback_scan_kernelILNS1_25lookback_scan_determinismE0ELb0ENS1_19wrapped_scan_configINS0_14default_configEiEEPKiPiSt10multipliesIiEiiNS1_19lookback_scan_stateIiLb0ELb1EEEEEvT2_T3_mT5_T4_T7_jPT6_SK_bb ; -- Begin function _ZN7rocprim17ROCPRIM_304000_NS6detail20lookback_scan_kernelILNS1_25lookback_scan_determinismE0ELb0ENS1_19wrapped_scan_configINS0_14default_configEiEEPKiPiSt10multipliesIiEiiNS1_19lookback_scan_stateIiLb0ELb1EEEEEvT2_T3_mT5_T4_T7_jPT6_SK_bb
	.globl	_ZN7rocprim17ROCPRIM_304000_NS6detail20lookback_scan_kernelILNS1_25lookback_scan_determinismE0ELb0ENS1_19wrapped_scan_configINS0_14default_configEiEEPKiPiSt10multipliesIiEiiNS1_19lookback_scan_stateIiLb0ELb1EEEEEvT2_T3_mT5_T4_T7_jPT6_SK_bb
	.p2align	8
	.type	_ZN7rocprim17ROCPRIM_304000_NS6detail20lookback_scan_kernelILNS1_25lookback_scan_determinismE0ELb0ENS1_19wrapped_scan_configINS0_14default_configEiEEPKiPiSt10multipliesIiEiiNS1_19lookback_scan_stateIiLb0ELb1EEEEEvT2_T3_mT5_T4_T7_jPT6_SK_bb,@function
_ZN7rocprim17ROCPRIM_304000_NS6detail20lookback_scan_kernelILNS1_25lookback_scan_determinismE0ELb0ENS1_19wrapped_scan_configINS0_14default_configEiEEPKiPiSt10multipliesIiEiiNS1_19lookback_scan_stateIiLb0ELb1EEEEEvT2_T3_mT5_T4_T7_jPT6_SK_bb: ; @_ZN7rocprim17ROCPRIM_304000_NS6detail20lookback_scan_kernelILNS1_25lookback_scan_determinismE0ELb0ENS1_19wrapped_scan_configINS0_14default_configEiEEPKiPiSt10multipliesIiEiiNS1_19lookback_scan_stateIiLb0ELb1EEEEEvT2_T3_mT5_T4_T7_jPT6_SK_bb
; %bb.0:
	s_load_dword s3, s[4:5], 0x28
	s_load_dwordx4 s[24:27], s[4:5], 0x0
	s_load_dwordx2 s[0:1], s[4:5], 0x10
	s_mul_i32 s2, s6, 0xf00
	v_lshlrev_b32_e32 v31, 2, v0
	s_waitcnt lgkmcnt(0)
	s_add_i32 s7, s3, -1
	s_mul_i32 s8, s7, 0xf00
	s_sub_u32 s23, s0, s8
	s_subb_u32 s33, s1, 0
	s_mov_b32 s3, 0
	s_cmp_lg_u32 s6, s7
	s_cselect_b64 s[28:29], -1, 0
	s_lshl_b64 s[30:31], s[2:3], 2
	s_add_u32 s2, s24, s30
	s_addc_u32 s3, s25, s31
	s_mov_b64 s[0:1], -1
	s_and_b64 vcc, exec, s[28:29]
	s_cbranch_vccz .LBB21_2
; %bb.1:
	v_mov_b32_e32 v1, s3
	v_add_co_u32_e32 v5, vcc, s2, v31
	v_addc_co_u32_e32 v6, vcc, 0, v1, vcc
	v_add_co_u32_e32 v1, vcc, 0x1000, v5
	v_addc_co_u32_e32 v2, vcc, 0, v6, vcc
	;; [unrolled: 2-line block ×3, first 2 shown]
	global_load_dword v7, v31, s[2:3]
	global_load_dword v8, v31, s[2:3] offset:1024
	global_load_dword v9, v31, s[2:3] offset:2048
	;; [unrolled: 1-line block ×3, first 2 shown]
	global_load_dword v11, v[1:2], off
	global_load_dword v12, v[1:2], off offset:1024
	global_load_dword v13, v[1:2], off offset:2048
	;; [unrolled: 1-line block ×3, first 2 shown]
	global_load_dword v15, v[3:4], off
	global_load_dword v16, v[3:4], off offset:1024
	global_load_dword v17, v[3:4], off offset:2048
	;; [unrolled: 1-line block ×3, first 2 shown]
	v_add_co_u32_e32 v1, vcc, 0x3000, v5
	v_addc_co_u32_e32 v2, vcc, 0, v6, vcc
	global_load_dword v3, v[1:2], off
	global_load_dword v4, v[1:2], off offset:1024
	global_load_dword v5, v[1:2], off offset:2048
	s_mov_b64 s[0:1], 0
	s_waitcnt vmcnt(13)
	ds_write2st64_b32 v31, v7, v8 offset1:4
	s_waitcnt vmcnt(11)
	ds_write2st64_b32 v31, v9, v10 offset0:8 offset1:12
	s_waitcnt vmcnt(9)
	ds_write2st64_b32 v31, v11, v12 offset0:16 offset1:20
	;; [unrolled: 2-line block ×6, first 2 shown]
	s_waitcnt vmcnt(0)
	ds_write_b32 v31, v5 offset:14336
	s_waitcnt lgkmcnt(0)
	s_barrier
.LBB21_2:
	s_andn2_b64 vcc, exec, s[0:1]
	v_cmp_gt_u32_e64 s[0:1], s23, v0
	s_cbranch_vccnz .LBB21_34
; %bb.3:
	s_load_dword s8, s[2:3], 0x0
	v_mov_b32_e32 v1, s3
	v_add_co_u32_e32 v17, vcc, s2, v31
	v_addc_co_u32_e32 v18, vcc, 0, v1, vcc
	s_waitcnt lgkmcnt(0)
	s_mov_b32 s9, s8
	s_mov_b32 s10, s8
	;; [unrolled: 1-line block ×14, first 2 shown]
	v_mov_b32_e32 v1, s8
	v_mov_b32_e32 v2, s9
	;; [unrolled: 1-line block ×16, first 2 shown]
	s_and_saveexec_b64 s[2:3], s[0:1]
	s_cbranch_execz .LBB21_5
; %bb.4:
	global_load_dword v1, v[17:18], off
	v_mov_b32_e32 v2, s8
	v_mov_b32_e32 v3, s8
	;; [unrolled: 1-line block ×14, first 2 shown]
.LBB21_5:
	s_or_b64 exec, exec, s[2:3]
	v_or_b32_e32 v16, 0x100, v0
	v_cmp_gt_u32_e32 vcc, s23, v16
	s_and_saveexec_b64 s[0:1], vcc
	s_cbranch_execz .LBB21_7
; %bb.6:
	global_load_dword v2, v[17:18], off offset:1024
.LBB21_7:
	s_or_b64 exec, exec, s[0:1]
	v_or_b32_e32 v16, 0x200, v0
	v_cmp_gt_u32_e32 vcc, s23, v16
	s_and_saveexec_b64 s[0:1], vcc
	s_cbranch_execz .LBB21_9
; %bb.8:
	global_load_dword v3, v[17:18], off offset:2048
.LBB21_9:
	;; [unrolled: 8-line block ×3, first 2 shown]
	s_or_b64 exec, exec, s[0:1]
	v_or_b32_e32 v16, 0x400, v0
	v_cmp_gt_u32_e32 vcc, s23, v16
	s_and_saveexec_b64 s[0:1], vcc
	s_cbranch_execz .LBB21_13
; %bb.12:
	v_add_co_u32_e32 v19, vcc, 0x1000, v17
	v_addc_co_u32_e32 v20, vcc, 0, v18, vcc
	global_load_dword v5, v[19:20], off
.LBB21_13:
	s_or_b64 exec, exec, s[0:1]
	v_or_b32_e32 v16, 0x500, v0
	v_cmp_gt_u32_e32 vcc, s23, v16
	s_and_saveexec_b64 s[0:1], vcc
	s_cbranch_execz .LBB21_15
; %bb.14:
	v_add_co_u32_e32 v19, vcc, 0x1000, v17
	v_addc_co_u32_e32 v20, vcc, 0, v18, vcc
	global_load_dword v6, v[19:20], off offset:1024
.LBB21_15:
	s_or_b64 exec, exec, s[0:1]
	v_or_b32_e32 v16, 0x600, v0
	v_cmp_gt_u32_e32 vcc, s23, v16
	s_and_saveexec_b64 s[0:1], vcc
	s_cbranch_execz .LBB21_17
; %bb.16:
	v_add_co_u32_e32 v19, vcc, 0x1000, v17
	v_addc_co_u32_e32 v20, vcc, 0, v18, vcc
	global_load_dword v7, v[19:20], off offset:2048
.LBB21_17:
	;; [unrolled: 10-line block ×3, first 2 shown]
	s_or_b64 exec, exec, s[0:1]
	v_or_b32_e32 v16, 0x800, v0
	v_cmp_gt_u32_e32 vcc, s23, v16
	s_and_saveexec_b64 s[0:1], vcc
	s_cbranch_execz .LBB21_21
; %bb.20:
	v_add_co_u32_e32 v19, vcc, 0x2000, v17
	v_addc_co_u32_e32 v20, vcc, 0, v18, vcc
	global_load_dword v9, v[19:20], off
.LBB21_21:
	s_or_b64 exec, exec, s[0:1]
	v_or_b32_e32 v16, 0x900, v0
	v_cmp_gt_u32_e32 vcc, s23, v16
	s_and_saveexec_b64 s[0:1], vcc
	s_cbranch_execz .LBB21_23
; %bb.22:
	v_add_co_u32_e32 v19, vcc, 0x2000, v17
	v_addc_co_u32_e32 v20, vcc, 0, v18, vcc
	global_load_dword v10, v[19:20], off offset:1024
.LBB21_23:
	s_or_b64 exec, exec, s[0:1]
	v_or_b32_e32 v16, 0xa00, v0
	v_cmp_gt_u32_e32 vcc, s23, v16
	s_and_saveexec_b64 s[0:1], vcc
	s_cbranch_execz .LBB21_25
; %bb.24:
	v_add_co_u32_e32 v19, vcc, 0x2000, v17
	v_addc_co_u32_e32 v20, vcc, 0, v18, vcc
	global_load_dword v11, v[19:20], off offset:2048
.LBB21_25:
	;; [unrolled: 10-line block ×3, first 2 shown]
	s_or_b64 exec, exec, s[0:1]
	v_or_b32_e32 v16, 0xc00, v0
	v_cmp_gt_u32_e32 vcc, s23, v16
	s_and_saveexec_b64 s[0:1], vcc
	s_cbranch_execz .LBB21_29
; %bb.28:
	v_add_co_u32_e32 v19, vcc, 0x3000, v17
	v_addc_co_u32_e32 v20, vcc, 0, v18, vcc
	global_load_dword v13, v[19:20], off
.LBB21_29:
	s_or_b64 exec, exec, s[0:1]
	v_or_b32_e32 v16, 0xd00, v0
	v_cmp_gt_u32_e32 vcc, s23, v16
	s_and_saveexec_b64 s[0:1], vcc
	s_cbranch_execz .LBB21_31
; %bb.30:
	v_add_co_u32_e32 v19, vcc, 0x3000, v17
	v_addc_co_u32_e32 v20, vcc, 0, v18, vcc
	global_load_dword v14, v[19:20], off offset:1024
.LBB21_31:
	s_or_b64 exec, exec, s[0:1]
	v_or_b32_e32 v16, 0xe00, v0
	v_cmp_gt_u32_e32 vcc, s23, v16
	s_and_saveexec_b64 s[0:1], vcc
	s_cbranch_execz .LBB21_33
; %bb.32:
	v_add_co_u32_e32 v15, vcc, 0x3000, v17
	v_addc_co_u32_e32 v16, vcc, 0, v18, vcc
	global_load_dword v15, v[15:16], off offset:2048
.LBB21_33:
	s_or_b64 exec, exec, s[0:1]
	s_waitcnt vmcnt(0)
	ds_write2st64_b32 v31, v1, v2 offset1:4
	ds_write2st64_b32 v31, v3, v4 offset0:8 offset1:12
	ds_write2st64_b32 v31, v5, v6 offset0:16 offset1:20
	;; [unrolled: 1-line block ×6, first 2 shown]
	ds_write_b32 v31, v15 offset:14336
	s_waitcnt lgkmcnt(0)
	s_barrier
.LBB21_34:
	v_mul_u32_u24_e32 v32, 60, v0
	ds_read2_b32 v[1:2], v32 offset1:1
	ds_read2_b32 v[29:30], v32 offset0:2 offset1:3
	ds_read2_b32 v[27:28], v32 offset0:4 offset1:5
	;; [unrolled: 1-line block ×6, first 2 shown]
	ds_read_b32 v33, v32 offset:56
	s_load_dwordx2 s[12:13], s[4:5], 0x20
	s_cmp_lg_u32 s6, 0
	v_lshrrev_b32_e32 v34, 3, v0
	v_cmp_gt_u32_e32 vcc, 64, v0
	s_waitcnt lgkmcnt(0)
	s_barrier
	s_cbranch_scc0 .LBB21_54
; %bb.35:
	v_mul_lo_u32 v3, v2, v1
	v_and_b32_e32 v4, 28, v34
	v_lshl_add_u32 v4, v0, 2, v4
	v_mul_lo_u32 v3, v3, v29
	v_mul_lo_u32 v3, v3, v30
	;; [unrolled: 1-line block ×13, first 2 shown]
	ds_write_b32 v4, v3
	s_waitcnt lgkmcnt(0)
	s_barrier
	s_and_saveexec_b64 s[2:3], vcc
	s_cbranch_execz .LBB21_37
; %bb.36:
	v_lshrrev_b32_e32 v4, 1, v0
	v_and_b32_e32 v4, 0x7c, v4
	v_lshl_add_u32 v8, v0, 4, v4
	ds_read2_b32 v[4:5], v8 offset1:1
	ds_read2_b32 v[6:7], v8 offset0:2 offset1:3
	v_mbcnt_lo_u32_b32 v10, -1, 0
	v_mbcnt_hi_u32_b32 v10, -1, v10
	v_and_b32_e32 v11, 15, v10
	s_waitcnt lgkmcnt(1)
	v_mul_lo_u32 v9, v5, v4
	v_cmp_ne_u32_e64 s[0:1], 0, v11
	s_waitcnt lgkmcnt(0)
	v_mul_lo_u32 v9, v9, v6
	v_mul_lo_u32 v9, v9, v7
	s_nop 1
	v_mov_b32_dpp v12, v9 row_shr:1 row_mask:0xf bank_mask:0xf
	v_cndmask_b32_e64 v12, 1, v12, s[0:1]
	v_mul_lo_u32 v9, v12, v9
	v_cmp_lt_u32_e64 s[0:1], 1, v11
	s_nop 0
	v_mov_b32_dpp v12, v9 row_shr:2 row_mask:0xf bank_mask:0xf
	v_cndmask_b32_e64 v12, 1, v12, s[0:1]
	v_mul_lo_u32 v9, v9, v12
	v_cmp_lt_u32_e64 s[0:1], 3, v11
	s_nop 0
	v_mov_b32_dpp v12, v9 row_shr:4 row_mask:0xf bank_mask:0xf
	v_cndmask_b32_e64 v12, 1, v12, s[0:1]
	v_mul_lo_u32 v9, v9, v12
	v_cmp_lt_u32_e64 s[0:1], 7, v11
	s_nop 0
	v_mov_b32_dpp v12, v9 row_shr:8 row_mask:0xf bank_mask:0xf
	v_cndmask_b32_e64 v11, 1, v12, s[0:1]
	v_mul_lo_u32 v9, v9, v11
	v_and_b32_e32 v11, 16, v10
	v_cmp_ne_u32_e64 s[0:1], 0, v11
	v_mov_b32_dpp v12, v9 row_bcast:15 row_mask:0xf bank_mask:0xf
	v_cndmask_b32_e64 v11, 1, v12, s[0:1]
	v_mul_lo_u32 v9, v9, v11
	v_cmp_lt_u32_e64 s[0:1], 31, v10
	v_add_u32_e32 v11, -1, v10
	v_mov_b32_dpp v12, v9 row_bcast:31 row_mask:0xf bank_mask:0xf
	v_cndmask_b32_e64 v12, 1, v12, s[0:1]
	v_mul_lo_u32 v9, v9, v12
	v_and_b32_e32 v12, 64, v10
	v_cmp_lt_i32_e64 s[0:1], v11, v12
	v_cndmask_b32_e64 v10, v11, v10, s[0:1]
	v_lshlrev_b32_e32 v10, 2, v10
	ds_bpermute_b32 v9, v10, v9
	v_cmp_eq_u32_e64 s[0:1], 0, v0
	s_waitcnt lgkmcnt(0)
	v_mul_lo_u32 v4, v9, v4
	v_cndmask_b32_e64 v3, v4, v3, s[0:1]
	v_mul_lo_u32 v4, v3, v5
	v_mul_lo_u32 v5, v4, v6
	;; [unrolled: 1-line block ×3, first 2 shown]
	ds_write2_b32 v8, v3, v4 offset1:1
	ds_write2_b32 v8, v5, v6 offset0:2 offset1:3
.LBB21_37:
	s_or_b64 exec, exec, s[2:3]
	v_cmp_eq_u32_e64 s[0:1], 0, v0
	v_cmp_ne_u32_e64 s[2:3], 0, v0
	v_mov_b32_e32 v12, 1
	s_waitcnt lgkmcnt(0)
	s_barrier
	s_and_saveexec_b64 s[8:9], s[2:3]
; %bb.38:
	v_add_u32_e32 v3, -1, v0
	v_lshrrev_b32_e32 v4, 3, v3
	v_and_b32_e32 v4, 0x1ffffffc, v4
	v_lshl_add_u32 v3, v3, 2, v4
	ds_read_b32 v12, v3
; %bb.39:
	s_or_b64 exec, exec, s[8:9]
	s_and_saveexec_b64 s[8:9], vcc
	s_cbranch_execz .LBB21_59
; %bb.40:
	v_mov_b32_e32 v8, 0
	ds_read_b32 v3, v8 offset:1048
	v_mbcnt_lo_u32_b32 v4, -1, 0
	v_mbcnt_hi_u32_b32 v5, -1, v4
	s_mov_b32 s15, 0
	v_cmp_eq_u32_e64 s[2:3], 0, v5
	s_and_saveexec_b64 s[10:11], s[2:3]
	s_cbranch_execz .LBB21_42
; %bb.41:
	s_add_i32 s14, s6, 64
	s_lshl_b64 s[14:15], s[14:15], 3
	s_add_u32 s14, s12, s14
	v_mov_b32_e32 v4, 1
	s_addc_u32 s15, s13, s15
	s_waitcnt lgkmcnt(0)
	global_store_dwordx2 v8, v[3:4], s[14:15]
.LBB21_42:
	s_or_b64 exec, exec, s[10:11]
	v_xad_u32 v4, v5, -1, s6
	v_add_u32_e32 v7, 64, v4
	v_lshlrev_b64 v[6:7], 3, v[7:8]
	v_mov_b32_e32 v10, s13
	v_add_co_u32_e32 v9, vcc, s12, v6
	v_addc_co_u32_e32 v10, vcc, v10, v7, vcc
	global_load_dwordx2 v[6:7], v[9:10], off glc
	s_waitcnt vmcnt(0)
	v_cmp_eq_u16_sdwa s[14:15], v7, v8 src0_sel:BYTE_0 src1_sel:DWORD
	s_and_saveexec_b64 s[10:11], s[14:15]
	s_cbranch_execz .LBB21_46
; %bb.43:
	s_mov_b64 s[14:15], 0
	v_mov_b32_e32 v8, 0
.LBB21_44:                              ; =>This Inner Loop Header: Depth=1
	global_load_dwordx2 v[6:7], v[9:10], off glc
	s_waitcnt vmcnt(0)
	v_cmp_ne_u16_sdwa s[16:17], v7, v8 src0_sel:BYTE_0 src1_sel:DWORD
	s_or_b64 s[14:15], s[16:17], s[14:15]
	s_andn2_b64 exec, exec, s[14:15]
	s_cbranch_execnz .LBB21_44
; %bb.45:
	s_or_b64 exec, exec, s[14:15]
.LBB21_46:
	s_or_b64 exec, exec, s[10:11]
	v_and_b32_e32 v36, 63, v5
	v_mov_b32_e32 v13, 2
	v_lshlrev_b64 v[8:9], v5, -1
	v_cmp_ne_u32_e32 vcc, 63, v36
	v_cmp_eq_u16_sdwa s[10:11], v7, v13 src0_sel:BYTE_0 src1_sel:DWORD
	v_addc_co_u32_e32 v14, vcc, 0, v5, vcc
	v_and_b32_e32 v10, s11, v9
	v_lshlrev_b32_e32 v14, 2, v14
	v_or_b32_e32 v10, 0x80000000, v10
	ds_bpermute_b32 v16, v14, v6
	v_and_b32_e32 v11, s10, v8
	v_ffbl_b32_e32 v10, v10
	v_add_u32_e32 v10, 32, v10
	v_ffbl_b32_e32 v11, v11
	v_min_u32_e32 v10, v11, v10
	v_add_u32_e32 v15, 1, v5
	v_cmp_le_u32_e32 vcc, v15, v10
	s_waitcnt lgkmcnt(0)
	v_cndmask_b32_e32 v11, 1, v16, vcc
	v_mul_lo_u32 v6, v11, v6
	v_cmp_gt_u32_e32 vcc, 62, v36
	v_cndmask_b32_e64 v11, 0, 2, vcc
	v_add_lshl_u32 v16, v11, v5, 2
	ds_bpermute_b32 v11, v16, v6
	v_add_u32_e32 v17, 2, v5
	v_cmp_le_u32_e32 vcc, v17, v10
	v_add_u32_e32 v35, 4, v5
	v_add_u32_e32 v38, 8, v5
	s_waitcnt lgkmcnt(0)
	v_cndmask_b32_e32 v11, 1, v11, vcc
	v_mul_lo_u32 v6, v6, v11
	v_cmp_gt_u32_e32 vcc, 60, v36
	v_cndmask_b32_e64 v11, 0, 4, vcc
	v_add_lshl_u32 v18, v11, v5, 2
	ds_bpermute_b32 v11, v18, v6
	v_cmp_le_u32_e32 vcc, v35, v10
	v_add_u32_e32 v40, 16, v5
	v_add_u32_e32 v42, 32, v5
	s_waitcnt lgkmcnt(0)
	v_cndmask_b32_e32 v11, 1, v11, vcc
	v_mul_lo_u32 v6, v6, v11
	v_cmp_gt_u32_e32 vcc, 56, v36
	v_cndmask_b32_e64 v11, 0, 8, vcc
	v_add_lshl_u32 v37, v11, v5, 2
	ds_bpermute_b32 v11, v37, v6
	v_cmp_le_u32_e32 vcc, v38, v10
	s_waitcnt lgkmcnt(0)
	v_cndmask_b32_e32 v11, 1, v11, vcc
	v_mul_lo_u32 v6, v6, v11
	v_cmp_gt_u32_e32 vcc, 48, v36
	v_cndmask_b32_e64 v11, 0, 16, vcc
	v_add_lshl_u32 v39, v11, v5, 2
	ds_bpermute_b32 v11, v39, v6
	v_cmp_le_u32_e32 vcc, v40, v10
	s_waitcnt lgkmcnt(0)
	v_cndmask_b32_e32 v11, 1, v11, vcc
	v_mul_lo_u32 v6, v6, v11
	v_mov_b32_e32 v11, 0x80
	v_lshl_or_b32 v41, v5, 2, v11
	v_cmp_le_u32_e32 vcc, v42, v10
	ds_bpermute_b32 v11, v41, v6
	s_waitcnt lgkmcnt(0)
	v_cndmask_b32_e32 v5, 1, v11, vcc
	v_mul_lo_u32 v6, v6, v5
	v_mov_b32_e32 v5, 0
	s_branch .LBB21_50
.LBB21_47:                              ;   in Loop: Header=BB21_50 Depth=1
	s_or_b64 exec, exec, s[14:15]
.LBB21_48:                              ;   in Loop: Header=BB21_50 Depth=1
	s_or_b64 exec, exec, s[10:11]
	v_cmp_eq_u16_sdwa s[10:11], v7, v13 src0_sel:BYTE_0 src1_sel:DWORD
	v_and_b32_e32 v10, s11, v9
	v_or_b32_e32 v10, 0x80000000, v10
	ds_bpermute_b32 v43, v14, v6
	v_and_b32_e32 v11, s10, v8
	v_ffbl_b32_e32 v10, v10
	v_add_u32_e32 v10, 32, v10
	v_ffbl_b32_e32 v11, v11
	v_min_u32_e32 v10, v11, v10
	v_cmp_le_u32_e32 vcc, v15, v10
	s_waitcnt lgkmcnt(0)
	v_cndmask_b32_e32 v11, 1, v43, vcc
	v_mul_lo_u32 v6, v11, v6
	v_cmp_le_u32_e32 vcc, v17, v10
	v_subrev_u32_e32 v4, 64, v4
	s_mov_b64 s[10:11], 0
	ds_bpermute_b32 v11, v16, v6
	s_waitcnt lgkmcnt(0)
	v_cndmask_b32_e32 v11, 1, v11, vcc
	v_mul_lo_u32 v6, v6, v11
	v_cmp_le_u32_e32 vcc, v35, v10
	ds_bpermute_b32 v11, v18, v6
	s_waitcnt lgkmcnt(0)
	v_cndmask_b32_e32 v11, 1, v11, vcc
	v_mul_lo_u32 v6, v6, v11
	v_cmp_le_u32_e32 vcc, v38, v10
	;; [unrolled: 5-line block ×4, first 2 shown]
	ds_bpermute_b32 v11, v41, v6
	s_waitcnt lgkmcnt(0)
	v_cndmask_b32_e32 v10, 1, v11, vcc
	v_mul_lo_u32 v10, v10, v36
	v_mul_lo_u32 v6, v10, v6
.LBB21_49:                              ;   in Loop: Header=BB21_50 Depth=1
	s_and_b64 vcc, exec, s[10:11]
	s_cbranch_vccnz .LBB21_55
.LBB21_50:                              ; =>This Loop Header: Depth=1
                                        ;     Child Loop BB21_53 Depth 2
	v_cmp_ne_u16_sdwa s[10:11], v7, v13 src0_sel:BYTE_0 src1_sel:DWORD
	v_mov_b32_e32 v36, v6
	s_cmp_lg_u64 s[10:11], exec
	s_mov_b64 s[10:11], -1
                                        ; implicit-def: $vgpr6
                                        ; implicit-def: $vgpr7
	s_cbranch_scc1 .LBB21_49
; %bb.51:                               ;   in Loop: Header=BB21_50 Depth=1
	v_lshlrev_b64 v[6:7], 3, v[4:5]
	v_mov_b32_e32 v11, s13
	v_add_co_u32_e32 v10, vcc, s12, v6
	v_addc_co_u32_e32 v11, vcc, v11, v7, vcc
	global_load_dwordx2 v[6:7], v[10:11], off glc
	s_waitcnt vmcnt(0)
	v_cmp_eq_u16_sdwa s[14:15], v7, v5 src0_sel:BYTE_0 src1_sel:DWORD
	s_and_saveexec_b64 s[10:11], s[14:15]
	s_cbranch_execz .LBB21_48
; %bb.52:                               ;   in Loop: Header=BB21_50 Depth=1
	s_mov_b64 s[14:15], 0
.LBB21_53:                              ;   Parent Loop BB21_50 Depth=1
                                        ; =>  This Inner Loop Header: Depth=2
	global_load_dwordx2 v[6:7], v[10:11], off glc
	s_waitcnt vmcnt(0)
	v_cmp_ne_u16_sdwa s[16:17], v7, v5 src0_sel:BYTE_0 src1_sel:DWORD
	s_or_b64 s[14:15], s[16:17], s[14:15]
	s_andn2_b64 exec, exec, s[14:15]
	s_cbranch_execnz .LBB21_53
	s_branch .LBB21_47
.LBB21_54:
                                        ; implicit-def: $vgpr3_vgpr4_vgpr5_vgpr6_vgpr7_vgpr8_vgpr9_vgpr10_vgpr11_vgpr12_vgpr13_vgpr14_vgpr15_vgpr16_vgpr17_vgpr18
	s_load_dwordx4 s[8:11], s[4:5], 0x30
	s_cbranch_execnz .LBB21_60
	s_branch .LBB21_69
.LBB21_55:
	s_and_saveexec_b64 s[10:11], s[2:3]
	s_cbranch_execz .LBB21_57
; %bb.56:
	v_mul_lo_u32 v3, v36, v3
	s_add_i32 s2, s6, 64
	s_mov_b32 s3, 0
	s_lshl_b64 s[2:3], s[2:3], 3
	s_add_u32 s2, s12, s2
	s_addc_u32 s3, s13, s3
	v_mov_b32_e32 v5, 0
	v_mov_b32_e32 v4, 2
	global_store_dwordx2 v5, v[3:4], s[2:3]
.LBB21_57:
	s_or_b64 exec, exec, s[10:11]
	s_and_b64 exec, exec, s[0:1]
; %bb.58:
	v_mov_b32_e32 v3, 0
	ds_write_b32 v3, v36
.LBB21_59:
	s_or_b64 exec, exec, s[8:9]
	v_mov_b32_e32 v3, 0
	s_waitcnt vmcnt(0) lgkmcnt(0)
	s_barrier
	ds_read_b32 v3, v3
	v_mul_lo_u32 v4, v12, v1
	s_waitcnt lgkmcnt(0)
	v_mul_lo_u32 v3, v4, v3
	v_mul_lo_u32 v4, v3, v2
	;; [unrolled: 1-line block ×15, first 2 shown]
	s_load_dwordx4 s[8:11], s[4:5], 0x30
	s_branch .LBB21_69
.LBB21_60:
	s_load_dword s2, s[4:5], 0x40
	v_cmp_eq_u32_e32 vcc, 0, v0
	v_cmp_ne_u32_e64 s[0:1], 0, v0
	s_waitcnt lgkmcnt(0)
	s_bitcmp1_b32 s2, 0
	s_cselect_b64 s[2:3], -1, 0
	s_and_b64 s[6:7], vcc, s[2:3]
	s_and_saveexec_b64 s[2:3], s[6:7]
	s_cbranch_execz .LBB21_62
; %bb.61:
	v_mov_b32_e32 v3, 0
	global_load_dword v3, v3, s[8:9]
	s_waitcnt vmcnt(0)
	v_mul_lo_u32 v1, v3, v1
.LBB21_62:
	s_or_b64 exec, exec, s[2:3]
	v_mul_lo_u32 v16, v2, v1
	v_and_b32_e32 v17, 28, v34
	v_lshl_add_u32 v17, v0, 2, v17
	v_cmp_gt_u32_e64 s[2:3], 64, v0
	v_mul_lo_u32 v3, v16, v29
	v_mul_lo_u32 v4, v3, v30
	v_mul_lo_u32 v5, v4, v27
	v_mul_lo_u32 v6, v5, v28
	v_mul_lo_u32 v7, v6, v25
	v_mul_lo_u32 v8, v7, v26
	v_mul_lo_u32 v9, v8, v23
	v_mul_lo_u32 v10, v9, v24
	v_mul_lo_u32 v11, v10, v21
	v_mul_lo_u32 v12, v11, v22
	v_mul_lo_u32 v13, v12, v19
	v_mul_lo_u32 v14, v13, v20
	v_mul_lo_u32 v15, v14, v33
	ds_write_b32 v17, v15
	s_waitcnt lgkmcnt(0)
	s_barrier
	s_and_saveexec_b64 s[6:7], s[2:3]
	s_cbranch_execz .LBB21_64
; %bb.63:
	v_lshrrev_b32_e32 v17, 1, v0
	v_and_b32_e32 v17, 0x7c, v17
	v_lshl_add_u32 v36, v0, 4, v17
	ds_read2_b32 v[17:18], v36 offset1:1
	ds_read2_b32 v[34:35], v36 offset0:2 offset1:3
	v_mbcnt_lo_u32_b32 v38, -1, 0
	v_mbcnt_hi_u32_b32 v38, -1, v38
	v_and_b32_e32 v39, 15, v38
	s_waitcnt lgkmcnt(1)
	v_mul_lo_u32 v37, v18, v17
	v_cmp_ne_u32_e64 s[2:3], 0, v39
	s_waitcnt lgkmcnt(0)
	v_mul_lo_u32 v37, v37, v34
	v_mul_lo_u32 v37, v37, v35
	s_nop 1
	v_mov_b32_dpp v40, v37 row_shr:1 row_mask:0xf bank_mask:0xf
	v_cndmask_b32_e64 v40, 1, v40, s[2:3]
	v_mul_lo_u32 v37, v40, v37
	v_cmp_lt_u32_e64 s[2:3], 1, v39
	s_nop 0
	v_mov_b32_dpp v40, v37 row_shr:2 row_mask:0xf bank_mask:0xf
	v_cndmask_b32_e64 v40, 1, v40, s[2:3]
	v_mul_lo_u32 v37, v37, v40
	v_cmp_lt_u32_e64 s[2:3], 3, v39
	;; [unrolled: 5-line block ×3, first 2 shown]
	s_nop 0
	v_mov_b32_dpp v40, v37 row_shr:8 row_mask:0xf bank_mask:0xf
	v_cndmask_b32_e64 v39, 1, v40, s[2:3]
	v_mul_lo_u32 v37, v37, v39
	v_and_b32_e32 v39, 16, v38
	v_cmp_ne_u32_e64 s[2:3], 0, v39
	v_mov_b32_dpp v40, v37 row_bcast:15 row_mask:0xf bank_mask:0xf
	v_cndmask_b32_e64 v39, 1, v40, s[2:3]
	v_mul_lo_u32 v37, v37, v39
	v_cmp_lt_u32_e64 s[2:3], 31, v38
	v_add_u32_e32 v39, -1, v38
	v_mov_b32_dpp v40, v37 row_bcast:31 row_mask:0xf bank_mask:0xf
	v_cndmask_b32_e64 v40, 1, v40, s[2:3]
	v_mul_lo_u32 v37, v37, v40
	v_and_b32_e32 v40, 64, v38
	v_cmp_lt_i32_e64 s[2:3], v39, v40
	v_cndmask_b32_e64 v38, v39, v38, s[2:3]
	v_lshlrev_b32_e32 v38, 2, v38
	ds_bpermute_b32 v37, v38, v37
	s_waitcnt lgkmcnt(0)
	v_mul_lo_u32 v17, v37, v17
	v_cndmask_b32_e32 v17, v17, v15, vcc
	v_mul_lo_u32 v18, v17, v18
	v_mul_lo_u32 v34, v18, v34
	;; [unrolled: 1-line block ×3, first 2 shown]
	ds_write2_b32 v36, v17, v18 offset1:1
	ds_write2_b32 v36, v34, v35 offset0:2 offset1:3
.LBB21_64:
	s_or_b64 exec, exec, s[6:7]
	s_waitcnt lgkmcnt(0)
	s_barrier
	s_and_saveexec_b64 s[2:3], s[0:1]
	s_cbranch_execz .LBB21_66
; %bb.65:
	v_add_u32_e32 v3, -1, v0
	v_lshrrev_b32_e32 v4, 3, v3
	v_and_b32_e32 v4, 0x1ffffffc, v4
	v_lshl_add_u32 v3, v3, 2, v4
	ds_read_b32 v3, v3
	s_waitcnt lgkmcnt(0)
	v_mul_lo_u32 v1, v3, v1
	v_mul_lo_u32 v16, v1, v2
	;; [unrolled: 1-line block ×15, first 2 shown]
.LBB21_66:
	s_or_b64 exec, exec, s[2:3]
	s_and_saveexec_b64 s[0:1], vcc
	s_cbranch_execz .LBB21_68
; %bb.67:
	v_mov_b32_e32 v2, 0
	ds_read_b32 v17, v2 offset:1048
	v_mov_b32_e32 v18, 2
	s_waitcnt lgkmcnt(0)
	global_store_dwordx2 v2, v[17:18], s[12:13] offset:512
.LBB21_68:
	s_or_b64 exec, exec, s[0:1]
	v_mov_b32_e32 v2, v16
	v_mov_b32_e32 v18, v16
	;; [unrolled: 1-line block ×17, first 2 shown]
.LBB21_69:
	s_add_u32 s0, s26, s30
	s_addc_u32 s1, s27, s31
	s_mov_b64 s[2:3], -1
	s_and_b64 vcc, exec, s[28:29]
	s_waitcnt vmcnt(0) lgkmcnt(0)
	s_barrier
	s_cbranch_vccz .LBB21_71
; %bb.70:
	v_mov_b32_e32 v33, s1
	v_add_co_u32_e32 v34, vcc, s0, v31
	ds_write2_b32 v32, v3, v4 offset1:1
	ds_write2_b32 v32, v5, v6 offset0:2 offset1:3
	ds_write2_b32 v32, v7, v8 offset0:4 offset1:5
	;; [unrolled: 1-line block ×6, first 2 shown]
	ds_write_b32 v32, v17 offset:56
	s_waitcnt lgkmcnt(0)
	s_barrier
	ds_read2st64_b32 v[1:2], v31 offset1:4
	ds_read2st64_b32 v[18:19], v31 offset0:8 offset1:12
	ds_read2st64_b32 v[20:21], v31 offset0:16 offset1:20
	;; [unrolled: 1-line block ×6, first 2 shown]
	ds_read_b32 v30, v31 offset:14336
	v_addc_co_u32_e32 v33, vcc, 0, v33, vcc
	s_movk_i32 s2, 0x1000
	s_waitcnt lgkmcnt(7)
	global_store_dword v31, v1, s[0:1]
	global_store_dword v31, v2, s[0:1] offset:1024
	s_waitcnt lgkmcnt(6)
	global_store_dword v31, v18, s[0:1] offset:2048
	global_store_dword v31, v19, s[0:1] offset:3072
	v_add_co_u32_e32 v1, vcc, s2, v34
	v_addc_co_u32_e32 v2, vcc, 0, v33, vcc
	s_movk_i32 s2, 0x2000
	v_add_co_u32_e32 v18, vcc, s2, v34
	v_addc_co_u32_e32 v19, vcc, 0, v33, vcc
	s_waitcnt lgkmcnt(5)
	global_store_dword v[18:19], v20, off offset:-4096
	global_store_dword v[1:2], v21, off offset:1024
	s_waitcnt lgkmcnt(4)
	global_store_dword v[1:2], v22, off offset:2048
	global_store_dword v[1:2], v23, off offset:3072
	s_waitcnt lgkmcnt(3)
	global_store_dword v[18:19], v24, off
	global_store_dword v[18:19], v25, off offset:1024
	s_waitcnt lgkmcnt(2)
	global_store_dword v[18:19], v26, off offset:2048
	global_store_dword v[18:19], v27, off offset:3072
	v_add_co_u32_e32 v1, vcc, 0x3000, v34
	v_addc_co_u32_e32 v2, vcc, 0, v33, vcc
	s_waitcnt lgkmcnt(1)
	global_store_dword v[1:2], v28, off
	global_store_dword v[1:2], v29, off offset:1024
	s_waitcnt lgkmcnt(0)
	global_store_dword v[1:2], v30, off offset:2048
	s_mov_b64 s[2:3], 0
.LBB21_71:
	s_andn2_b64 vcc, exec, s[2:3]
	s_cbranch_vccnz .LBB21_157
; %bb.72:
	ds_write2_b32 v32, v3, v4 offset1:1
	ds_write2_b32 v32, v5, v6 offset0:2 offset1:3
	ds_write2_b32 v32, v7, v8 offset0:4 offset1:5
	;; [unrolled: 1-line block ×6, first 2 shown]
	ds_write_b32 v32, v17 offset:56
	s_waitcnt vmcnt(0) lgkmcnt(0)
	s_barrier
	ds_read2st64_b32 v[4:5], v31 offset1:4
	ds_read2st64_b32 v[8:9], v31 offset0:8 offset1:12
	ds_read2st64_b32 v[6:7], v31 offset0:16 offset1:20
	;; [unrolled: 1-line block ×6, first 2 shown]
	ds_read_b32 v18, v31 offset:14336
	v_mov_b32_e32 v17, s1
	v_add_co_u32_e32 v16, vcc, s0, v31
	v_addc_co_u32_e32 v17, vcc, 0, v17, vcc
	v_mov_b32_e32 v1, 0
	v_cmp_gt_u32_e32 vcc, s23, v0
	s_and_saveexec_b64 s[0:1], vcc
	s_cbranch_execz .LBB21_74
; %bb.73:
	s_waitcnt lgkmcnt(7)
	global_store_dword v[16:17], v4, off
.LBB21_74:
	s_or_b64 exec, exec, s[0:1]
	v_or_b32_e32 v19, 0x100, v0
	v_cmp_gt_u32_e32 vcc, s23, v19
	s_and_saveexec_b64 s[0:1], vcc
	s_cbranch_execz .LBB21_76
; %bb.75:
	s_waitcnt lgkmcnt(7)
	global_store_dword v[16:17], v5, off offset:1024
.LBB21_76:
	s_or_b64 exec, exec, s[0:1]
	v_or_b32_e32 v19, 0x200, v0
	v_cmp_gt_u32_e32 vcc, s23, v19
	s_and_saveexec_b64 s[0:1], vcc
	s_cbranch_execz .LBB21_78
; %bb.77:
	s_waitcnt lgkmcnt(6)
	global_store_dword v[16:17], v8, off offset:2048
.LBB21_78:
	;; [unrolled: 9-line block ×3, first 2 shown]
	s_or_b64 exec, exec, s[0:1]
	v_or_b32_e32 v19, 0x400, v0
	v_cmp_gt_u32_e32 vcc, s23, v19
	s_and_saveexec_b64 s[0:1], vcc
	s_cbranch_execz .LBB21_82
; %bb.81:
	v_add_co_u32_e32 v19, vcc, 0x1000, v16
	v_addc_co_u32_e32 v20, vcc, 0, v17, vcc
	s_waitcnt lgkmcnt(5)
	global_store_dword v[19:20], v6, off
.LBB21_82:
	s_or_b64 exec, exec, s[0:1]
	v_or_b32_e32 v19, 0x500, v0
	v_cmp_gt_u32_e32 vcc, s23, v19
	s_and_saveexec_b64 s[0:1], vcc
	s_cbranch_execz .LBB21_84
; %bb.83:
	v_add_co_u32_e32 v19, vcc, 0x1000, v16
	v_addc_co_u32_e32 v20, vcc, 0, v17, vcc
	s_waitcnt lgkmcnt(5)
	global_store_dword v[19:20], v7, off offset:1024
.LBB21_84:
	s_or_b64 exec, exec, s[0:1]
	v_or_b32_e32 v19, 0x600, v0
	v_cmp_gt_u32_e32 vcc, s23, v19
	s_and_saveexec_b64 s[0:1], vcc
	s_cbranch_execz .LBB21_86
; %bb.85:
	v_add_co_u32_e32 v19, vcc, 0x1000, v16
	v_addc_co_u32_e32 v20, vcc, 0, v17, vcc
	s_waitcnt lgkmcnt(4)
	global_store_dword v[19:20], v14, off offset:2048
.LBB21_86:
	;; [unrolled: 11-line block ×3, first 2 shown]
	s_or_b64 exec, exec, s[0:1]
	v_or_b32_e32 v19, 0x800, v0
	v_cmp_gt_u32_e32 vcc, s23, v19
	s_and_saveexec_b64 s[0:1], vcc
	s_cbranch_execz .LBB21_90
; %bb.89:
	v_add_co_u32_e32 v19, vcc, 0x2000, v16
	v_addc_co_u32_e32 v20, vcc, 0, v17, vcc
	s_waitcnt lgkmcnt(3)
	global_store_dword v[19:20], v10, off
.LBB21_90:
	s_or_b64 exec, exec, s[0:1]
	v_or_b32_e32 v19, 0x900, v0
	v_cmp_gt_u32_e32 vcc, s23, v19
	s_and_saveexec_b64 s[0:1], vcc
	s_cbranch_execz .LBB21_92
; %bb.91:
	v_add_co_u32_e32 v19, vcc, 0x2000, v16
	v_addc_co_u32_e32 v20, vcc, 0, v17, vcc
	s_waitcnt lgkmcnt(3)
	global_store_dword v[19:20], v11, off offset:1024
.LBB21_92:
	s_or_b64 exec, exec, s[0:1]
	v_or_b32_e32 v19, 0xa00, v0
	v_cmp_gt_u32_e32 vcc, s23, v19
	s_and_saveexec_b64 s[0:1], vcc
	s_cbranch_execz .LBB21_94
; %bb.93:
	v_add_co_u32_e32 v19, vcc, 0x2000, v16
	v_addc_co_u32_e32 v20, vcc, 0, v17, vcc
	s_waitcnt lgkmcnt(2)
	global_store_dword v[19:20], v2, off offset:2048
.LBB21_94:
	;; [unrolled: 11-line block ×3, first 2 shown]
	s_or_b64 exec, exec, s[0:1]
	v_or_b32_e32 v19, 0xc00, v0
	v_cmp_gt_u32_e32 vcc, s23, v19
	s_and_saveexec_b64 s[0:1], vcc
	s_cbranch_execz .LBB21_98
; %bb.97:
	v_add_co_u32_e32 v19, vcc, 0x3000, v16
	v_addc_co_u32_e32 v20, vcc, 0, v17, vcc
	s_waitcnt lgkmcnt(1)
	global_store_dword v[19:20], v12, off
.LBB21_98:
	s_or_b64 exec, exec, s[0:1]
	v_or_b32_e32 v19, 0xd00, v0
	v_cmp_gt_u32_e32 vcc, s23, v19
	s_and_saveexec_b64 s[0:1], vcc
	s_cbranch_execz .LBB21_100
; %bb.99:
	v_add_co_u32_e32 v19, vcc, 0x3000, v16
	v_addc_co_u32_e32 v20, vcc, 0, v17, vcc
	s_waitcnt lgkmcnt(1)
	global_store_dword v[19:20], v13, off offset:1024
.LBB21_100:
	s_or_b64 exec, exec, s[0:1]
	v_or_b32_e32 v19, 0xe00, v0
	v_cmp_gt_u32_e32 vcc, s23, v19
	s_and_saveexec_b64 s[0:1], vcc
	s_cbranch_execz .LBB21_102
; %bb.101:
	v_add_co_u32_e32 v16, vcc, 0x3000, v16
	v_addc_co_u32_e32 v17, vcc, 0, v17, vcc
	s_waitcnt lgkmcnt(0)
	global_store_dword v[16:17], v18, off offset:2048
.LBB21_102:
	s_or_b64 exec, exec, s[0:1]
	s_load_dword s0, s[4:5], 0x40
	s_waitcnt lgkmcnt(0)
	s_bfe_u32 s0, s0, 0x10008
	s_cmp_eq_u32 s0, 0
	s_cbranch_scc1 .LBB21_157
; %bb.103:
	s_add_u32 s0, s23, -1
	s_addc_u32 s1, s33, -1
	s_mul_i32 s5, s1, 0x88888889
	s_mul_hi_u32 s6, s0, 0x88888889
	s_mul_hi_u32 s4, s1, 0x88888889
	s_add_u32 s5, s5, s6
	s_mul_i32 s3, s0, 0x88888888
	s_addc_u32 s4, s4, 0
	s_mul_hi_u32 s2, s0, 0x88888888
	s_add_u32 s3, s3, s5
	s_addc_u32 s2, s2, 0
	s_add_u32 s2, s4, s2
	s_addc_u32 s3, 0, 0
	s_mul_i32 s5, s1, 0x88888888
	s_mul_hi_u32 s4, s1, 0x88888888
	s_add_u32 s2, s5, s2
	s_addc_u32 s3, s4, s3
	s_lshr_b64 s[2:3], s[2:3], 3
	v_cmp_eq_u64_e32 vcc, s[2:3], v[0:1]
	s_and_saveexec_b64 s[2:3], vcc
	s_cbranch_execz .LBB21_157
; %bb.104:
	v_mul_hi_u32_u24_e32 v1, 15, v0
	v_mul_u32_u24_e32 v0, 15, v0
	v_mov_b32_e32 v16, s1
	v_sub_co_u32_e32 v0, vcc, s0, v0
	v_subb_co_u32_e32 v1, vcc, v16, v1, vcc
	v_cmp_lt_i64_e32 vcc, 7, v[0:1]
	s_and_saveexec_b64 s[0:1], vcc
	s_xor_b64 s[0:1], exec, s[0:1]
	s_cbranch_execz .LBB21_130
; %bb.105:
	v_cmp_lt_i64_e32 vcc, 10, v[0:1]
	s_and_saveexec_b64 s[2:3], vcc
	s_xor_b64 s[2:3], exec, s[2:3]
	s_cbranch_execz .LBB21_119
; %bb.106:
	;; [unrolled: 5-line block ×4, first 2 shown]
	v_mov_b32_e32 v0, 0
	global_store_dword v0, v18, s[10:11]
                                        ; implicit-def: $vgpr12_vgpr13
.LBB21_109:
	s_andn2_saveexec_b64 s[6:7], s[6:7]
	s_cbranch_execz .LBB21_111
; %bb.110:
	v_mov_b32_e32 v0, 0
	global_store_dword v0, v13, s[10:11]
.LBB21_111:
	s_or_b64 exec, exec, s[6:7]
                                        ; implicit-def: $vgpr2_vgpr3
                                        ; implicit-def: $vgpr0_vgpr1
                                        ; implicit-def: $vgpr12_vgpr13
.LBB21_112:
	s_andn2_saveexec_b64 s[4:5], s[4:5]
	s_cbranch_execz .LBB21_118
; %bb.113:
	v_cmp_lt_i64_e32 vcc, 11, v[0:1]
	s_and_saveexec_b64 s[6:7], vcc
	s_xor_b64 s[6:7], exec, s[6:7]
	s_cbranch_execz .LBB21_115
; %bb.114:
	v_mov_b32_e32 v0, 0
	global_store_dword v0, v12, s[10:11]
                                        ; implicit-def: $vgpr2_vgpr3
.LBB21_115:
	s_andn2_saveexec_b64 s[6:7], s[6:7]
	s_cbranch_execz .LBB21_117
; %bb.116:
	v_mov_b32_e32 v0, 0
	global_store_dword v0, v3, s[10:11]
.LBB21_117:
	s_or_b64 exec, exec, s[6:7]
.LBB21_118:
	s_or_b64 exec, exec, s[4:5]
                                        ; implicit-def: $vgpr10_vgpr11
                                        ; implicit-def: $vgpr0_vgpr1
                                        ; implicit-def: $vgpr2_vgpr3
.LBB21_119:
	s_andn2_saveexec_b64 s[2:3], s[2:3]
	s_cbranch_execz .LBB21_129
; %bb.120:
	v_cmp_lt_i64_e32 vcc, 8, v[0:1]
	s_and_saveexec_b64 s[4:5], vcc
	s_xor_b64 s[4:5], exec, s[4:5]
	s_cbranch_execz .LBB21_126
; %bb.121:
	v_cmp_lt_i64_e32 vcc, 9, v[0:1]
	s_and_saveexec_b64 s[6:7], vcc
	s_xor_b64 s[6:7], exec, s[6:7]
	s_cbranch_execz .LBB21_123
; %bb.122:
	v_mov_b32_e32 v0, 0
	global_store_dword v0, v2, s[10:11]
                                        ; implicit-def: $vgpr10_vgpr11
.LBB21_123:
	s_andn2_saveexec_b64 s[6:7], s[6:7]
	s_cbranch_execz .LBB21_125
; %bb.124:
	v_mov_b32_e32 v0, 0
	global_store_dword v0, v11, s[10:11]
.LBB21_125:
	s_or_b64 exec, exec, s[6:7]
                                        ; implicit-def: $vgpr10_vgpr11
.LBB21_126:
	s_andn2_saveexec_b64 s[4:5], s[4:5]
	s_cbranch_execz .LBB21_128
; %bb.127:
	v_mov_b32_e32 v0, 0
	global_store_dword v0, v10, s[10:11]
.LBB21_128:
	s_or_b64 exec, exec, s[4:5]
.LBB21_129:
	s_or_b64 exec, exec, s[2:3]
                                        ; implicit-def: $vgpr0_vgpr1
                                        ; implicit-def: $vgpr4_vgpr5
                                        ; implicit-def: $vgpr6_vgpr7
                                        ; implicit-def: $vgpr8_vgpr9
                                        ; implicit-def: $vgpr14_vgpr15
.LBB21_130:
	s_andn2_saveexec_b64 s[0:1], s[0:1]
	s_cbranch_execz .LBB21_157
; %bb.131:
	v_cmp_lt_i64_e32 vcc, 3, v[0:1]
	s_and_saveexec_b64 s[0:1], vcc
	s_xor_b64 s[0:1], exec, s[0:1]
	s_cbranch_execz .LBB21_145
; %bb.132:
	v_cmp_lt_i64_e32 vcc, 5, v[0:1]
	s_and_saveexec_b64 s[2:3], vcc
	s_xor_b64 s[2:3], exec, s[2:3]
	;; [unrolled: 5-line block ×3, first 2 shown]
	s_cbranch_execz .LBB21_135
; %bb.134:
	v_mov_b32_e32 v0, 0
	global_store_dword v0, v15, s[10:11]
                                        ; implicit-def: $vgpr14_vgpr15
.LBB21_135:
	s_andn2_saveexec_b64 s[4:5], s[4:5]
	s_cbranch_execz .LBB21_137
; %bb.136:
	v_mov_b32_e32 v0, 0
	global_store_dword v0, v14, s[10:11]
.LBB21_137:
	s_or_b64 exec, exec, s[4:5]
                                        ; implicit-def: $vgpr6_vgpr7
                                        ; implicit-def: $vgpr0_vgpr1
.LBB21_138:
	s_andn2_saveexec_b64 s[2:3], s[2:3]
	s_cbranch_execz .LBB21_144
; %bb.139:
	v_cmp_lt_i64_e32 vcc, 4, v[0:1]
	s_and_saveexec_b64 s[4:5], vcc
	s_xor_b64 s[4:5], exec, s[4:5]
	s_cbranch_execz .LBB21_141
; %bb.140:
	v_mov_b32_e32 v0, 0
	global_store_dword v0, v7, s[10:11]
                                        ; implicit-def: $vgpr6_vgpr7
.LBB21_141:
	s_andn2_saveexec_b64 s[4:5], s[4:5]
	s_cbranch_execz .LBB21_143
; %bb.142:
	v_mov_b32_e32 v0, 0
	global_store_dword v0, v6, s[10:11]
.LBB21_143:
	s_or_b64 exec, exec, s[4:5]
.LBB21_144:
	s_or_b64 exec, exec, s[2:3]
                                        ; implicit-def: $vgpr0_vgpr1
                                        ; implicit-def: $vgpr4_vgpr5
                                        ; implicit-def: $vgpr8_vgpr9
.LBB21_145:
	s_andn2_saveexec_b64 s[0:1], s[0:1]
	s_cbranch_execz .LBB21_157
; %bb.146:
	v_cmp_lt_i64_e32 vcc, 1, v[0:1]
	s_and_saveexec_b64 s[0:1], vcc
	s_xor_b64 s[0:1], exec, s[0:1]
	s_cbranch_execz .LBB21_152
; %bb.147:
	v_cmp_lt_i64_e32 vcc, 2, v[0:1]
	s_and_saveexec_b64 s[2:3], vcc
	s_xor_b64 s[2:3], exec, s[2:3]
	s_cbranch_execz .LBB21_149
; %bb.148:
	v_mov_b32_e32 v0, 0
	global_store_dword v0, v9, s[10:11]
                                        ; implicit-def: $vgpr8_vgpr9
.LBB21_149:
	s_andn2_saveexec_b64 s[2:3], s[2:3]
	s_cbranch_execz .LBB21_151
; %bb.150:
	v_mov_b32_e32 v0, 0
	global_store_dword v0, v8, s[10:11]
.LBB21_151:
	s_or_b64 exec, exec, s[2:3]
                                        ; implicit-def: $vgpr4_vgpr5
                                        ; implicit-def: $vgpr0_vgpr1
.LBB21_152:
	s_andn2_saveexec_b64 s[0:1], s[0:1]
	s_cbranch_execz .LBB21_157
; %bb.153:
	v_cmp_ne_u64_e32 vcc, 1, v[0:1]
	s_and_saveexec_b64 s[0:1], vcc
	s_xor_b64 s[0:1], exec, s[0:1]
	s_cbranch_execz .LBB21_155
; %bb.154:
	v_mov_b32_e32 v0, 0
	global_store_dword v0, v4, s[10:11]
                                        ; implicit-def: $vgpr4_vgpr5
.LBB21_155:
	s_andn2_saveexec_b64 s[0:1], s[0:1]
	s_cbranch_execz .LBB21_157
; %bb.156:
	v_mov_b32_e32 v0, 0
	global_store_dword v0, v5, s[10:11]
.LBB21_157:
	s_endpgm
	.section	.rodata,"a",@progbits
	.p2align	6, 0x0
	.amdhsa_kernel _ZN7rocprim17ROCPRIM_304000_NS6detail20lookback_scan_kernelILNS1_25lookback_scan_determinismE0ELb0ENS1_19wrapped_scan_configINS0_14default_configEiEEPKiPiSt10multipliesIiEiiNS1_19lookback_scan_stateIiLb0ELb1EEEEEvT2_T3_mT5_T4_T7_jPT6_SK_bb
		.amdhsa_group_segment_fixed_size 15360
		.amdhsa_private_segment_fixed_size 0
		.amdhsa_kernarg_size 68
		.amdhsa_user_sgpr_count 6
		.amdhsa_user_sgpr_private_segment_buffer 1
		.amdhsa_user_sgpr_dispatch_ptr 0
		.amdhsa_user_sgpr_queue_ptr 0
		.amdhsa_user_sgpr_kernarg_segment_ptr 1
		.amdhsa_user_sgpr_dispatch_id 0
		.amdhsa_user_sgpr_flat_scratch_init 0
		.amdhsa_user_sgpr_private_segment_size 0
		.amdhsa_uses_dynamic_stack 0
		.amdhsa_system_sgpr_private_segment_wavefront_offset 0
		.amdhsa_system_sgpr_workgroup_id_x 1
		.amdhsa_system_sgpr_workgroup_id_y 0
		.amdhsa_system_sgpr_workgroup_id_z 0
		.amdhsa_system_sgpr_workgroup_info 0
		.amdhsa_system_vgpr_workitem_id 0
		.amdhsa_next_free_vgpr 49
		.amdhsa_next_free_sgpr 98
		.amdhsa_reserve_vcc 1
		.amdhsa_reserve_flat_scratch 0
		.amdhsa_float_round_mode_32 0
		.amdhsa_float_round_mode_16_64 0
		.amdhsa_float_denorm_mode_32 3
		.amdhsa_float_denorm_mode_16_64 3
		.amdhsa_dx10_clamp 1
		.amdhsa_ieee_mode 1
		.amdhsa_fp16_overflow 0
		.amdhsa_exception_fp_ieee_invalid_op 0
		.amdhsa_exception_fp_denorm_src 0
		.amdhsa_exception_fp_ieee_div_zero 0
		.amdhsa_exception_fp_ieee_overflow 0
		.amdhsa_exception_fp_ieee_underflow 0
		.amdhsa_exception_fp_ieee_inexact 0
		.amdhsa_exception_int_div_zero 0
	.end_amdhsa_kernel
	.section	.text._ZN7rocprim17ROCPRIM_304000_NS6detail20lookback_scan_kernelILNS1_25lookback_scan_determinismE0ELb0ENS1_19wrapped_scan_configINS0_14default_configEiEEPKiPiSt10multipliesIiEiiNS1_19lookback_scan_stateIiLb0ELb1EEEEEvT2_T3_mT5_T4_T7_jPT6_SK_bb,"axG",@progbits,_ZN7rocprim17ROCPRIM_304000_NS6detail20lookback_scan_kernelILNS1_25lookback_scan_determinismE0ELb0ENS1_19wrapped_scan_configINS0_14default_configEiEEPKiPiSt10multipliesIiEiiNS1_19lookback_scan_stateIiLb0ELb1EEEEEvT2_T3_mT5_T4_T7_jPT6_SK_bb,comdat
.Lfunc_end21:
	.size	_ZN7rocprim17ROCPRIM_304000_NS6detail20lookback_scan_kernelILNS1_25lookback_scan_determinismE0ELb0ENS1_19wrapped_scan_configINS0_14default_configEiEEPKiPiSt10multipliesIiEiiNS1_19lookback_scan_stateIiLb0ELb1EEEEEvT2_T3_mT5_T4_T7_jPT6_SK_bb, .Lfunc_end21-_ZN7rocprim17ROCPRIM_304000_NS6detail20lookback_scan_kernelILNS1_25lookback_scan_determinismE0ELb0ENS1_19wrapped_scan_configINS0_14default_configEiEEPKiPiSt10multipliesIiEiiNS1_19lookback_scan_stateIiLb0ELb1EEEEEvT2_T3_mT5_T4_T7_jPT6_SK_bb
                                        ; -- End function
	.set _ZN7rocprim17ROCPRIM_304000_NS6detail20lookback_scan_kernelILNS1_25lookback_scan_determinismE0ELb0ENS1_19wrapped_scan_configINS0_14default_configEiEEPKiPiSt10multipliesIiEiiNS1_19lookback_scan_stateIiLb0ELb1EEEEEvT2_T3_mT5_T4_T7_jPT6_SK_bb.num_vgpr, 44
	.set _ZN7rocprim17ROCPRIM_304000_NS6detail20lookback_scan_kernelILNS1_25lookback_scan_determinismE0ELb0ENS1_19wrapped_scan_configINS0_14default_configEiEEPKiPiSt10multipliesIiEiiNS1_19lookback_scan_stateIiLb0ELb1EEEEEvT2_T3_mT5_T4_T7_jPT6_SK_bb.num_agpr, 0
	.set _ZN7rocprim17ROCPRIM_304000_NS6detail20lookback_scan_kernelILNS1_25lookback_scan_determinismE0ELb0ENS1_19wrapped_scan_configINS0_14default_configEiEEPKiPiSt10multipliesIiEiiNS1_19lookback_scan_stateIiLb0ELb1EEEEEvT2_T3_mT5_T4_T7_jPT6_SK_bb.numbered_sgpr, 34
	.set _ZN7rocprim17ROCPRIM_304000_NS6detail20lookback_scan_kernelILNS1_25lookback_scan_determinismE0ELb0ENS1_19wrapped_scan_configINS0_14default_configEiEEPKiPiSt10multipliesIiEiiNS1_19lookback_scan_stateIiLb0ELb1EEEEEvT2_T3_mT5_T4_T7_jPT6_SK_bb.num_named_barrier, 0
	.set _ZN7rocprim17ROCPRIM_304000_NS6detail20lookback_scan_kernelILNS1_25lookback_scan_determinismE0ELb0ENS1_19wrapped_scan_configINS0_14default_configEiEEPKiPiSt10multipliesIiEiiNS1_19lookback_scan_stateIiLb0ELb1EEEEEvT2_T3_mT5_T4_T7_jPT6_SK_bb.private_seg_size, 0
	.set _ZN7rocprim17ROCPRIM_304000_NS6detail20lookback_scan_kernelILNS1_25lookback_scan_determinismE0ELb0ENS1_19wrapped_scan_configINS0_14default_configEiEEPKiPiSt10multipliesIiEiiNS1_19lookback_scan_stateIiLb0ELb1EEEEEvT2_T3_mT5_T4_T7_jPT6_SK_bb.uses_vcc, 1
	.set _ZN7rocprim17ROCPRIM_304000_NS6detail20lookback_scan_kernelILNS1_25lookback_scan_determinismE0ELb0ENS1_19wrapped_scan_configINS0_14default_configEiEEPKiPiSt10multipliesIiEiiNS1_19lookback_scan_stateIiLb0ELb1EEEEEvT2_T3_mT5_T4_T7_jPT6_SK_bb.uses_flat_scratch, 0
	.set _ZN7rocprim17ROCPRIM_304000_NS6detail20lookback_scan_kernelILNS1_25lookback_scan_determinismE0ELb0ENS1_19wrapped_scan_configINS0_14default_configEiEEPKiPiSt10multipliesIiEiiNS1_19lookback_scan_stateIiLb0ELb1EEEEEvT2_T3_mT5_T4_T7_jPT6_SK_bb.has_dyn_sized_stack, 0
	.set _ZN7rocprim17ROCPRIM_304000_NS6detail20lookback_scan_kernelILNS1_25lookback_scan_determinismE0ELb0ENS1_19wrapped_scan_configINS0_14default_configEiEEPKiPiSt10multipliesIiEiiNS1_19lookback_scan_stateIiLb0ELb1EEEEEvT2_T3_mT5_T4_T7_jPT6_SK_bb.has_recursion, 0
	.set _ZN7rocprim17ROCPRIM_304000_NS6detail20lookback_scan_kernelILNS1_25lookback_scan_determinismE0ELb0ENS1_19wrapped_scan_configINS0_14default_configEiEEPKiPiSt10multipliesIiEiiNS1_19lookback_scan_stateIiLb0ELb1EEEEEvT2_T3_mT5_T4_T7_jPT6_SK_bb.has_indirect_call, 0
	.section	.AMDGPU.csdata,"",@progbits
; Kernel info:
; codeLenInByte = 5980
; TotalNumSgprs: 38
; NumVgprs: 44
; ScratchSize: 0
; MemoryBound: 0
; FloatMode: 240
; IeeeMode: 1
; LDSByteSize: 15360 bytes/workgroup (compile time only)
; SGPRBlocks: 12
; VGPRBlocks: 12
; NumSGPRsForWavesPerEU: 102
; NumVGPRsForWavesPerEU: 49
; Occupancy: 4
; WaveLimiterHint : 1
; COMPUTE_PGM_RSRC2:SCRATCH_EN: 0
; COMPUTE_PGM_RSRC2:USER_SGPR: 6
; COMPUTE_PGM_RSRC2:TRAP_HANDLER: 0
; COMPUTE_PGM_RSRC2:TGID_X_EN: 1
; COMPUTE_PGM_RSRC2:TGID_Y_EN: 0
; COMPUTE_PGM_RSRC2:TGID_Z_EN: 0
; COMPUTE_PGM_RSRC2:TIDIG_COMP_CNT: 0
	.section	.text._ZN7rocprim17ROCPRIM_304000_NS6detail16transform_kernelINS1_24wrapped_transform_configINS0_14default_configEiEEiPiS6_NS0_8identityIiEEEEvT1_mT2_T3_,"axG",@progbits,_ZN7rocprim17ROCPRIM_304000_NS6detail16transform_kernelINS1_24wrapped_transform_configINS0_14default_configEiEEiPiS6_NS0_8identityIiEEEEvT1_mT2_T3_,comdat
	.protected	_ZN7rocprim17ROCPRIM_304000_NS6detail16transform_kernelINS1_24wrapped_transform_configINS0_14default_configEiEEiPiS6_NS0_8identityIiEEEEvT1_mT2_T3_ ; -- Begin function _ZN7rocprim17ROCPRIM_304000_NS6detail16transform_kernelINS1_24wrapped_transform_configINS0_14default_configEiEEiPiS6_NS0_8identityIiEEEEvT1_mT2_T3_
	.globl	_ZN7rocprim17ROCPRIM_304000_NS6detail16transform_kernelINS1_24wrapped_transform_configINS0_14default_configEiEEiPiS6_NS0_8identityIiEEEEvT1_mT2_T3_
	.p2align	8
	.type	_ZN7rocprim17ROCPRIM_304000_NS6detail16transform_kernelINS1_24wrapped_transform_configINS0_14default_configEiEEiPiS6_NS0_8identityIiEEEEvT1_mT2_T3_,@function
_ZN7rocprim17ROCPRIM_304000_NS6detail16transform_kernelINS1_24wrapped_transform_configINS0_14default_configEiEEiPiS6_NS0_8identityIiEEEEvT1_mT2_T3_: ; @_ZN7rocprim17ROCPRIM_304000_NS6detail16transform_kernelINS1_24wrapped_transform_configINS0_14default_configEiEEiPiS6_NS0_8identityIiEEEEvT1_mT2_T3_
; %bb.0:
	s_load_dword s7, s[4:5], 0x20
	s_load_dwordx4 s[0:3], s[4:5], 0x0
	s_load_dwordx2 s[8:9], s[4:5], 0x10
	s_lshl_b32 s10, s6, 11
	s_mov_b32 s11, 0
	s_waitcnt lgkmcnt(0)
	s_add_i32 s7, s7, -1
	s_lshl_b64 s[4:5], s[10:11], 2
	s_add_u32 s0, s0, s4
	s_addc_u32 s1, s1, s5
	v_lshlrev_b32_e32 v5, 2, v0
	v_mov_b32_e32 v2, s1
	v_add_co_u32_e32 v1, vcc, s0, v5
	s_cmp_lg_u32 s6, s7
	v_addc_co_u32_e32 v2, vcc, 0, v2, vcc
	s_cbranch_scc0 .LBB22_2
; %bb.1:
	v_add_co_u32_e32 v3, vcc, 0x1000, v1
	global_load_dword v6, v[1:2], off
	v_addc_co_u32_e32 v4, vcc, 0, v2, vcc
	global_load_dword v3, v[3:4], off
	s_add_u32 s0, s8, s4
	s_addc_u32 s1, s9, s5
	s_mov_b64 s[6:7], -1
	s_waitcnt vmcnt(1)
	global_store_dword v5, v6, s[0:1]
	s_cbranch_execz .LBB22_3
	s_branch .LBB22_10
.LBB22_2:
	s_mov_b64 s[6:7], 0
                                        ; implicit-def: $vgpr3
.LBB22_3:
	s_sub_i32 s10, s2, s10
	s_waitcnt vmcnt(1)
	v_mov_b32_e32 v3, 0
	v_cmp_gt_u32_e64 s[0:1], s10, v0
	v_mov_b32_e32 v4, v3
	s_and_saveexec_b64 s[2:3], s[0:1]
	s_cbranch_execz .LBB22_5
; %bb.4:
	global_load_dword v6, v[1:2], off
	v_mov_b32_e32 v7, v3
	s_waitcnt vmcnt(0)
	v_mov_b32_e32 v3, v6
	v_mov_b32_e32 v4, v7
.LBB22_5:
	s_or_b64 exec, exec, s[2:3]
	v_or_b32_e32 v0, 0x400, v0
	v_cmp_gt_u32_e64 s[2:3], s10, v0
	s_and_saveexec_b64 s[10:11], s[2:3]
	s_cbranch_execnz .LBB22_13
; %bb.6:
	s_or_b64 exec, exec, s[10:11]
	v_cndmask_b32_e64 v0, 0, v3, s[0:1]
	s_and_saveexec_b64 s[10:11], s[0:1]
	s_cbranch_execnz .LBB22_14
.LBB22_7:
	s_or_b64 exec, exec, s[10:11]
                                        ; implicit-def: $vgpr3
	s_and_saveexec_b64 s[0:1], s[2:3]
	s_cbranch_execz .LBB22_9
.LBB22_8:
	s_waitcnt vmcnt(0)
	v_cndmask_b32_e64 v3, 0, v4, s[2:3]
	s_or_b64 s[6:7], s[6:7], exec
.LBB22_9:
	s_or_b64 exec, exec, s[0:1]
.LBB22_10:
	s_and_saveexec_b64 s[0:1], s[6:7]
	s_cbranch_execnz .LBB22_12
; %bb.11:
	s_endpgm
.LBB22_12:
	s_add_u32 s0, s8, s4
	s_addc_u32 s1, s9, s5
	v_mov_b32_e32 v0, s1
	v_add_co_u32_e32 v1, vcc, s0, v5
	v_addc_co_u32_e32 v2, vcc, 0, v0, vcc
	v_add_co_u32_e32 v0, vcc, 0x1000, v1
	v_addc_co_u32_e32 v1, vcc, 0, v2, vcc
	s_waitcnt vmcnt(1)
	global_store_dword v[0:1], v3, off
	s_endpgm
.LBB22_13:
	v_add_co_u32_e32 v0, vcc, 0x1000, v1
	v_addc_co_u32_e32 v1, vcc, 0, v2, vcc
	global_load_dword v4, v[0:1], off
	s_or_b64 exec, exec, s[10:11]
	v_cndmask_b32_e64 v0, 0, v3, s[0:1]
	s_and_saveexec_b64 s[10:11], s[0:1]
	s_cbranch_execz .LBB22_7
.LBB22_14:
	s_add_u32 s0, s8, s4
	s_addc_u32 s1, s9, s5
	global_store_dword v5, v0, s[0:1]
	s_or_b64 exec, exec, s[10:11]
                                        ; implicit-def: $vgpr3
	s_and_saveexec_b64 s[0:1], s[2:3]
	s_cbranch_execnz .LBB22_8
	s_branch .LBB22_9
	.section	.rodata,"a",@progbits
	.p2align	6, 0x0
	.amdhsa_kernel _ZN7rocprim17ROCPRIM_304000_NS6detail16transform_kernelINS1_24wrapped_transform_configINS0_14default_configEiEEiPiS6_NS0_8identityIiEEEEvT1_mT2_T3_
		.amdhsa_group_segment_fixed_size 0
		.amdhsa_private_segment_fixed_size 0
		.amdhsa_kernarg_size 288
		.amdhsa_user_sgpr_count 6
		.amdhsa_user_sgpr_private_segment_buffer 1
		.amdhsa_user_sgpr_dispatch_ptr 0
		.amdhsa_user_sgpr_queue_ptr 0
		.amdhsa_user_sgpr_kernarg_segment_ptr 1
		.amdhsa_user_sgpr_dispatch_id 0
		.amdhsa_user_sgpr_flat_scratch_init 0
		.amdhsa_user_sgpr_private_segment_size 0
		.amdhsa_uses_dynamic_stack 0
		.amdhsa_system_sgpr_private_segment_wavefront_offset 0
		.amdhsa_system_sgpr_workgroup_id_x 1
		.amdhsa_system_sgpr_workgroup_id_y 0
		.amdhsa_system_sgpr_workgroup_id_z 0
		.amdhsa_system_sgpr_workgroup_info 0
		.amdhsa_system_vgpr_workitem_id 0
		.amdhsa_next_free_vgpr 8
		.amdhsa_next_free_sgpr 12
		.amdhsa_reserve_vcc 1
		.amdhsa_reserve_flat_scratch 0
		.amdhsa_float_round_mode_32 0
		.amdhsa_float_round_mode_16_64 0
		.amdhsa_float_denorm_mode_32 3
		.amdhsa_float_denorm_mode_16_64 3
		.amdhsa_dx10_clamp 1
		.amdhsa_ieee_mode 1
		.amdhsa_fp16_overflow 0
		.amdhsa_exception_fp_ieee_invalid_op 0
		.amdhsa_exception_fp_denorm_src 0
		.amdhsa_exception_fp_ieee_div_zero 0
		.amdhsa_exception_fp_ieee_overflow 0
		.amdhsa_exception_fp_ieee_underflow 0
		.amdhsa_exception_fp_ieee_inexact 0
		.amdhsa_exception_int_div_zero 0
	.end_amdhsa_kernel
	.section	.text._ZN7rocprim17ROCPRIM_304000_NS6detail16transform_kernelINS1_24wrapped_transform_configINS0_14default_configEiEEiPiS6_NS0_8identityIiEEEEvT1_mT2_T3_,"axG",@progbits,_ZN7rocprim17ROCPRIM_304000_NS6detail16transform_kernelINS1_24wrapped_transform_configINS0_14default_configEiEEiPiS6_NS0_8identityIiEEEEvT1_mT2_T3_,comdat
.Lfunc_end22:
	.size	_ZN7rocprim17ROCPRIM_304000_NS6detail16transform_kernelINS1_24wrapped_transform_configINS0_14default_configEiEEiPiS6_NS0_8identityIiEEEEvT1_mT2_T3_, .Lfunc_end22-_ZN7rocprim17ROCPRIM_304000_NS6detail16transform_kernelINS1_24wrapped_transform_configINS0_14default_configEiEEiPiS6_NS0_8identityIiEEEEvT1_mT2_T3_
                                        ; -- End function
	.set _ZN7rocprim17ROCPRIM_304000_NS6detail16transform_kernelINS1_24wrapped_transform_configINS0_14default_configEiEEiPiS6_NS0_8identityIiEEEEvT1_mT2_T3_.num_vgpr, 8
	.set _ZN7rocprim17ROCPRIM_304000_NS6detail16transform_kernelINS1_24wrapped_transform_configINS0_14default_configEiEEiPiS6_NS0_8identityIiEEEEvT1_mT2_T3_.num_agpr, 0
	.set _ZN7rocprim17ROCPRIM_304000_NS6detail16transform_kernelINS1_24wrapped_transform_configINS0_14default_configEiEEiPiS6_NS0_8identityIiEEEEvT1_mT2_T3_.numbered_sgpr, 12
	.set _ZN7rocprim17ROCPRIM_304000_NS6detail16transform_kernelINS1_24wrapped_transform_configINS0_14default_configEiEEiPiS6_NS0_8identityIiEEEEvT1_mT2_T3_.num_named_barrier, 0
	.set _ZN7rocprim17ROCPRIM_304000_NS6detail16transform_kernelINS1_24wrapped_transform_configINS0_14default_configEiEEiPiS6_NS0_8identityIiEEEEvT1_mT2_T3_.private_seg_size, 0
	.set _ZN7rocprim17ROCPRIM_304000_NS6detail16transform_kernelINS1_24wrapped_transform_configINS0_14default_configEiEEiPiS6_NS0_8identityIiEEEEvT1_mT2_T3_.uses_vcc, 1
	.set _ZN7rocprim17ROCPRIM_304000_NS6detail16transform_kernelINS1_24wrapped_transform_configINS0_14default_configEiEEiPiS6_NS0_8identityIiEEEEvT1_mT2_T3_.uses_flat_scratch, 0
	.set _ZN7rocprim17ROCPRIM_304000_NS6detail16transform_kernelINS1_24wrapped_transform_configINS0_14default_configEiEEiPiS6_NS0_8identityIiEEEEvT1_mT2_T3_.has_dyn_sized_stack, 0
	.set _ZN7rocprim17ROCPRIM_304000_NS6detail16transform_kernelINS1_24wrapped_transform_configINS0_14default_configEiEEiPiS6_NS0_8identityIiEEEEvT1_mT2_T3_.has_recursion, 0
	.set _ZN7rocprim17ROCPRIM_304000_NS6detail16transform_kernelINS1_24wrapped_transform_configINS0_14default_configEiEEiPiS6_NS0_8identityIiEEEEvT1_mT2_T3_.has_indirect_call, 0
	.section	.AMDGPU.csdata,"",@progbits
; Kernel info:
; codeLenInByte = 408
; TotalNumSgprs: 16
; NumVgprs: 8
; ScratchSize: 0
; MemoryBound: 0
; FloatMode: 240
; IeeeMode: 1
; LDSByteSize: 0 bytes/workgroup (compile time only)
; SGPRBlocks: 1
; VGPRBlocks: 1
; NumSGPRsForWavesPerEU: 16
; NumVGPRsForWavesPerEU: 8
; Occupancy: 10
; WaveLimiterHint : 1
; COMPUTE_PGM_RSRC2:SCRATCH_EN: 0
; COMPUTE_PGM_RSRC2:USER_SGPR: 6
; COMPUTE_PGM_RSRC2:TRAP_HANDLER: 0
; COMPUTE_PGM_RSRC2:TGID_X_EN: 1
; COMPUTE_PGM_RSRC2:TGID_Y_EN: 0
; COMPUTE_PGM_RSRC2:TGID_Z_EN: 0
; COMPUTE_PGM_RSRC2:TIDIG_COMP_CNT: 0
	.section	.text._ZN7rocprim17ROCPRIM_304000_NS6detail18single_scan_kernelILb0ENS1_19wrapped_scan_configINS0_14default_configEiEEPKiPiSt10multipliesIiEiiEEvT1_mT4_T2_T3_,"axG",@progbits,_ZN7rocprim17ROCPRIM_304000_NS6detail18single_scan_kernelILb0ENS1_19wrapped_scan_configINS0_14default_configEiEEPKiPiSt10multipliesIiEiiEEvT1_mT4_T2_T3_,comdat
	.protected	_ZN7rocprim17ROCPRIM_304000_NS6detail18single_scan_kernelILb0ENS1_19wrapped_scan_configINS0_14default_configEiEEPKiPiSt10multipliesIiEiiEEvT1_mT4_T2_T3_ ; -- Begin function _ZN7rocprim17ROCPRIM_304000_NS6detail18single_scan_kernelILb0ENS1_19wrapped_scan_configINS0_14default_configEiEEPKiPiSt10multipliesIiEiiEEvT1_mT4_T2_T3_
	.globl	_ZN7rocprim17ROCPRIM_304000_NS6detail18single_scan_kernelILb0ENS1_19wrapped_scan_configINS0_14default_configEiEEPKiPiSt10multipliesIiEiiEEvT1_mT4_T2_T3_
	.p2align	8
	.type	_ZN7rocprim17ROCPRIM_304000_NS6detail18single_scan_kernelILb0ENS1_19wrapped_scan_configINS0_14default_configEiEEPKiPiSt10multipliesIiEiiEEvT1_mT4_T2_T3_,@function
_ZN7rocprim17ROCPRIM_304000_NS6detail18single_scan_kernelILb0ENS1_19wrapped_scan_configINS0_14default_configEiEEPKiPiSt10multipliesIiEiiEEvT1_mT4_T2_T3_: ; @_ZN7rocprim17ROCPRIM_304000_NS6detail18single_scan_kernelILb0ENS1_19wrapped_scan_configINS0_14default_configEiEEPKiPiSt10multipliesIiEiiEEvT1_mT4_T2_T3_
; %bb.0:
	s_load_dwordx4 s[28:31], s[4:5], 0x0
	v_lshlrev_b32_e32 v19, 2, v0
	s_waitcnt lgkmcnt(0)
	s_load_dword s8, s[28:29], 0x0
	v_mov_b32_e32 v1, s29
	v_add_co_u32_e32 v17, vcc, s28, v19
	v_addc_co_u32_e32 v18, vcc, 0, v1, vcc
	s_waitcnt lgkmcnt(0)
	s_mov_b32 s9, s8
	s_mov_b32 s10, s8
	;; [unrolled: 1-line block ×14, first 2 shown]
	v_mov_b32_e32 v1, s8
	v_cmp_gt_u32_e64 s[0:1], s30, v0
	v_mov_b32_e32 v2, s9
	v_mov_b32_e32 v3, s10
	;; [unrolled: 1-line block ×15, first 2 shown]
	s_and_saveexec_b64 s[2:3], s[0:1]
	s_cbranch_execz .LBB23_2
; %bb.1:
	global_load_dword v1, v[17:18], off
	v_mov_b32_e32 v2, s8
	v_mov_b32_e32 v3, s8
	;; [unrolled: 1-line block ×14, first 2 shown]
.LBB23_2:
	s_or_b64 exec, exec, s[2:3]
	v_or_b32_e32 v16, 0x100, v0
	v_cmp_gt_u32_e64 s[2:3], s30, v16
	s_and_saveexec_b64 s[6:7], s[2:3]
	s_cbranch_execz .LBB23_4
; %bb.3:
	global_load_dword v2, v[17:18], off offset:1024
.LBB23_4:
	s_or_b64 exec, exec, s[6:7]
	v_or_b32_e32 v16, 0x200, v0
	v_cmp_gt_u32_e64 s[6:7], s30, v16
	s_and_saveexec_b64 s[8:9], s[6:7]
	s_cbranch_execz .LBB23_6
; %bb.5:
	global_load_dword v3, v[17:18], off offset:2048
.LBB23_6:
	;; [unrolled: 8-line block ×3, first 2 shown]
	s_or_b64 exec, exec, s[10:11]
	v_or_b32_e32 v16, 0x400, v0
	v_cmp_gt_u32_e64 s[10:11], s30, v16
	s_and_saveexec_b64 s[12:13], s[10:11]
	s_cbranch_execz .LBB23_10
; %bb.9:
	v_add_co_u32_e32 v20, vcc, 0x1000, v17
	v_addc_co_u32_e32 v21, vcc, 0, v18, vcc
	global_load_dword v5, v[20:21], off
.LBB23_10:
	s_or_b64 exec, exec, s[12:13]
	v_or_b32_e32 v16, 0x500, v0
	v_cmp_gt_u32_e64 s[12:13], s30, v16
	s_and_saveexec_b64 s[14:15], s[12:13]
	s_cbranch_execz .LBB23_12
; %bb.11:
	v_add_co_u32_e32 v20, vcc, 0x1000, v17
	v_addc_co_u32_e32 v21, vcc, 0, v18, vcc
	global_load_dword v6, v[20:21], off offset:1024
.LBB23_12:
	s_or_b64 exec, exec, s[14:15]
	v_or_b32_e32 v16, 0x600, v0
	v_cmp_gt_u32_e64 s[14:15], s30, v16
	s_and_saveexec_b64 s[16:17], s[14:15]
	s_cbranch_execz .LBB23_14
; %bb.13:
	v_add_co_u32_e32 v20, vcc, 0x1000, v17
	v_addc_co_u32_e32 v21, vcc, 0, v18, vcc
	global_load_dword v7, v[20:21], off offset:2048
.LBB23_14:
	;; [unrolled: 10-line block ×3, first 2 shown]
	s_or_b64 exec, exec, s[18:19]
	v_or_b32_e32 v16, 0x800, v0
	v_cmp_gt_u32_e64 s[18:19], s30, v16
	s_and_saveexec_b64 s[20:21], s[18:19]
	s_cbranch_execz .LBB23_18
; %bb.17:
	v_add_co_u32_e32 v20, vcc, 0x2000, v17
	v_addc_co_u32_e32 v21, vcc, 0, v18, vcc
	global_load_dword v9, v[20:21], off
.LBB23_18:
	s_or_b64 exec, exec, s[20:21]
	v_or_b32_e32 v16, 0x900, v0
	v_cmp_gt_u32_e64 s[20:21], s30, v16
	s_and_saveexec_b64 s[22:23], s[20:21]
	s_cbranch_execz .LBB23_20
; %bb.19:
	v_add_co_u32_e32 v20, vcc, 0x2000, v17
	v_addc_co_u32_e32 v21, vcc, 0, v18, vcc
	global_load_dword v10, v[20:21], off offset:1024
.LBB23_20:
	s_or_b64 exec, exec, s[22:23]
	v_or_b32_e32 v16, 0xa00, v0
	v_cmp_gt_u32_e64 s[22:23], s30, v16
	s_and_saveexec_b64 s[24:25], s[22:23]
	s_cbranch_execz .LBB23_22
; %bb.21:
	v_add_co_u32_e32 v20, vcc, 0x2000, v17
	v_addc_co_u32_e32 v21, vcc, 0, v18, vcc
	global_load_dword v11, v[20:21], off offset:2048
.LBB23_22:
	;; [unrolled: 10-line block ×3, first 2 shown]
	s_or_b64 exec, exec, s[26:27]
	v_or_b32_e32 v16, 0xc00, v0
	v_cmp_gt_u32_e64 s[26:27], s30, v16
	s_and_saveexec_b64 s[28:29], s[26:27]
	s_cbranch_execz .LBB23_26
; %bb.25:
	v_add_co_u32_e32 v20, vcc, 0x3000, v17
	v_addc_co_u32_e32 v21, vcc, 0, v18, vcc
	global_load_dword v13, v[20:21], off
.LBB23_26:
	s_or_b64 exec, exec, s[28:29]
	v_or_b32_e32 v16, 0xd00, v0
	v_cmp_gt_u32_e64 s[28:29], s30, v16
	s_and_saveexec_b64 s[34:35], s[28:29]
	s_cbranch_execz .LBB23_28
; %bb.27:
	v_add_co_u32_e32 v20, vcc, 0x3000, v17
	v_addc_co_u32_e32 v21, vcc, 0, v18, vcc
	global_load_dword v14, v[20:21], off offset:1024
.LBB23_28:
	s_or_b64 exec, exec, s[34:35]
	v_or_b32_e32 v16, 0xe00, v0
	v_cmp_gt_u32_e64 s[30:31], s30, v16
	s_and_saveexec_b64 s[34:35], s[30:31]
	s_cbranch_execz .LBB23_30
; %bb.29:
	v_add_co_u32_e32 v15, vcc, 0x3000, v17
	v_addc_co_u32_e32 v16, vcc, 0, v18, vcc
	global_load_dword v15, v[15:16], off offset:2048
.LBB23_30:
	s_or_b64 exec, exec, s[34:35]
	v_mad_u32_u24 v23, v0, 56, v19
	s_waitcnt vmcnt(0)
	ds_write2st64_b32 v19, v1, v2 offset1:4
	ds_write2st64_b32 v19, v3, v4 offset0:8 offset1:12
	ds_write2st64_b32 v19, v5, v6 offset0:16 offset1:20
	;; [unrolled: 1-line block ×6, first 2 shown]
	ds_write_b32 v19, v15 offset:14336
	s_waitcnt lgkmcnt(0)
	s_barrier
	ds_read2_b32 v[1:2], v23 offset1:1
	ds_read2_b32 v[7:8], v23 offset0:2 offset1:3
	ds_read2_b32 v[5:6], v23 offset0:4 offset1:5
	;; [unrolled: 1-line block ×4, first 2 shown]
	s_waitcnt lgkmcnt(4)
	v_mul_lo_u32 v15, v2, v1
	ds_read2_b32 v[13:14], v23 offset0:10 offset1:11
	ds_read2_b32 v[9:10], v23 offset0:12 offset1:13
	ds_read_b32 v30, v23 offset:56
	v_lshrrev_b32_e32 v31, 3, v0
	v_and_b32_e32 v31, 28, v31
	s_waitcnt lgkmcnt(6)
	v_mul_lo_u32 v16, v15, v7
	v_add_u32_e32 v31, v19, v31
	v_cmp_gt_u32_e32 vcc, 64, v0
	s_waitcnt lgkmcnt(0)
	v_mul_lo_u32 v17, v16, v8
	s_barrier
	v_mul_lo_u32 v18, v17, v5
	v_mul_lo_u32 v20, v18, v6
	;; [unrolled: 1-line block ×11, first 2 shown]
	ds_write_b32 v31, v29
	s_waitcnt lgkmcnt(0)
	s_barrier
	s_and_saveexec_b64 s[34:35], vcc
	s_cbranch_execz .LBB23_32
; %bb.31:
	v_lshrrev_b32_e32 v31, 1, v0
	v_and_b32_e32 v31, 0x7c, v31
	v_lshl_add_u32 v35, v0, 4, v31
	ds_read2_b32 v[31:32], v35 offset1:1
	ds_read2_b32 v[33:34], v35 offset0:2 offset1:3
	v_mbcnt_lo_u32_b32 v37, -1, 0
	v_mbcnt_hi_u32_b32 v37, -1, v37
	v_and_b32_e32 v38, 15, v37
	s_waitcnt lgkmcnt(1)
	v_mul_lo_u32 v36, v32, v31
	v_cmp_ne_u32_e32 vcc, 0, v38
	s_waitcnt lgkmcnt(0)
	v_mul_lo_u32 v36, v36, v33
	v_mul_lo_u32 v36, v36, v34
	s_nop 1
	v_mov_b32_dpp v39, v36 row_shr:1 row_mask:0xf bank_mask:0xf
	v_cndmask_b32_e32 v39, 1, v39, vcc
	v_mul_lo_u32 v36, v39, v36
	v_cmp_lt_u32_e32 vcc, 1, v38
	s_nop 0
	v_mov_b32_dpp v39, v36 row_shr:2 row_mask:0xf bank_mask:0xf
	v_cndmask_b32_e32 v39, 1, v39, vcc
	v_mul_lo_u32 v36, v36, v39
	v_cmp_lt_u32_e32 vcc, 3, v38
	;; [unrolled: 5-line block ×3, first 2 shown]
	s_nop 0
	v_mov_b32_dpp v39, v36 row_shr:8 row_mask:0xf bank_mask:0xf
	v_cndmask_b32_e32 v38, 1, v39, vcc
	v_mul_lo_u32 v36, v36, v38
	v_and_b32_e32 v38, 16, v37
	v_cmp_ne_u32_e32 vcc, 0, v38
	v_mov_b32_dpp v39, v36 row_bcast:15 row_mask:0xf bank_mask:0xf
	v_cndmask_b32_e32 v38, 1, v39, vcc
	v_mul_lo_u32 v36, v36, v38
	v_cmp_lt_u32_e32 vcc, 31, v37
	v_add_u32_e32 v38, -1, v37
	v_mov_b32_dpp v39, v36 row_bcast:31 row_mask:0xf bank_mask:0xf
	v_cndmask_b32_e32 v39, 1, v39, vcc
	v_mul_lo_u32 v36, v36, v39
	v_and_b32_e32 v39, 64, v37
	v_cmp_lt_i32_e32 vcc, v38, v39
	v_cndmask_b32_e32 v37, v38, v37, vcc
	v_lshlrev_b32_e32 v37, 2, v37
	ds_bpermute_b32 v36, v37, v36
	v_cmp_eq_u32_e32 vcc, 0, v0
	s_waitcnt lgkmcnt(0)
	v_mul_lo_u32 v31, v36, v31
	v_cndmask_b32_e32 v31, v31, v29, vcc
	v_mul_lo_u32 v32, v31, v32
	v_mul_lo_u32 v33, v32, v33
	;; [unrolled: 1-line block ×3, first 2 shown]
	ds_write2_b32 v35, v31, v32 offset1:1
	ds_write2_b32 v35, v33, v34 offset0:2 offset1:3
.LBB23_32:
	s_or_b64 exec, exec, s[34:35]
	v_mul_u32_u24_e32 v31, 56, v0
	v_cmp_ne_u32_e32 vcc, 0, v0
	s_waitcnt lgkmcnt(0)
	s_barrier
	s_and_saveexec_b64 s[34:35], vcc
	s_cbranch_execz .LBB23_34
; %bb.33:
	v_add_u32_e32 v0, -1, v0
	v_lshrrev_b32_e32 v15, 3, v0
	v_and_b32_e32 v15, 0x1ffffffc, v15
	v_lshl_add_u32 v0, v0, 2, v15
	ds_read_b32 v0, v0
	s_waitcnt lgkmcnt(0)
	v_mul_lo_u32 v1, v0, v1
	v_mul_lo_u32 v15, v1, v2
	;; [unrolled: 1-line block ×15, first 2 shown]
.LBB23_34:
	s_or_b64 exec, exec, s[34:35]
	v_add_u32_e32 v0, v19, v31
	s_barrier
	ds_write2_b32 v0, v1, v15 offset1:1
	ds_write2_b32 v0, v16, v17 offset0:2 offset1:3
	ds_write2_b32 v0, v18, v20 offset0:4 offset1:5
	;; [unrolled: 1-line block ×6, first 2 shown]
	ds_write_b32 v0, v29 offset:56
	s_waitcnt lgkmcnt(0)
	s_barrier
	ds_read2st64_b32 v[14:15], v19 offset0:4 offset1:8
	ds_read2st64_b32 v[12:13], v19 offset0:12 offset1:16
	;; [unrolled: 1-line block ×7, first 2 shown]
	s_load_dwordx2 s[4:5], s[4:5], 0x18
	s_waitcnt lgkmcnt(0)
	v_mov_b32_e32 v3, s5
	v_add_co_u32_e32 v2, vcc, s4, v19
	v_addc_co_u32_e32 v3, vcc, 0, v3, vcc
	s_and_saveexec_b64 s[4:5], s[0:1]
	s_cbranch_execnz .LBB23_50
; %bb.35:
	s_or_b64 exec, exec, s[4:5]
	s_and_saveexec_b64 s[0:1], s[2:3]
	s_cbranch_execnz .LBB23_51
.LBB23_36:
	s_or_b64 exec, exec, s[0:1]
	s_and_saveexec_b64 s[0:1], s[6:7]
	s_cbranch_execnz .LBB23_52
.LBB23_37:
	s_or_b64 exec, exec, s[0:1]
	s_and_saveexec_b64 s[0:1], s[8:9]
	s_cbranch_execnz .LBB23_53
.LBB23_38:
	s_or_b64 exec, exec, s[0:1]
	s_and_saveexec_b64 s[0:1], s[10:11]
	s_cbranch_execnz .LBB23_54
.LBB23_39:
	s_or_b64 exec, exec, s[0:1]
	s_and_saveexec_b64 s[0:1], s[12:13]
	s_cbranch_execnz .LBB23_55
.LBB23_40:
	s_or_b64 exec, exec, s[0:1]
	s_and_saveexec_b64 s[0:1], s[14:15]
	s_cbranch_execnz .LBB23_56
.LBB23_41:
	s_or_b64 exec, exec, s[0:1]
	s_and_saveexec_b64 s[0:1], s[16:17]
	s_cbranch_execnz .LBB23_57
.LBB23_42:
	s_or_b64 exec, exec, s[0:1]
	s_and_saveexec_b64 s[0:1], s[18:19]
	s_cbranch_execnz .LBB23_58
.LBB23_43:
	s_or_b64 exec, exec, s[0:1]
	s_and_saveexec_b64 s[0:1], s[20:21]
	s_cbranch_execnz .LBB23_59
.LBB23_44:
	s_or_b64 exec, exec, s[0:1]
	s_and_saveexec_b64 s[0:1], s[22:23]
	s_cbranch_execnz .LBB23_60
.LBB23_45:
	s_or_b64 exec, exec, s[0:1]
	s_and_saveexec_b64 s[0:1], s[24:25]
	s_cbranch_execnz .LBB23_61
.LBB23_46:
	s_or_b64 exec, exec, s[0:1]
	s_and_saveexec_b64 s[0:1], s[26:27]
	s_cbranch_execnz .LBB23_62
.LBB23_47:
	s_or_b64 exec, exec, s[0:1]
	s_and_saveexec_b64 s[0:1], s[28:29]
	s_cbranch_execnz .LBB23_63
.LBB23_48:
	s_or_b64 exec, exec, s[0:1]
	s_and_saveexec_b64 s[0:1], s[30:31]
	s_cbranch_execnz .LBB23_64
.LBB23_49:
	s_endpgm
.LBB23_50:
	ds_read_b32 v16, v19
	s_waitcnt lgkmcnt(0)
	global_store_dword v[2:3], v16, off
	s_or_b64 exec, exec, s[4:5]
	s_and_saveexec_b64 s[0:1], s[2:3]
	s_cbranch_execz .LBB23_36
.LBB23_51:
	global_store_dword v[2:3], v14, off offset:1024
	s_or_b64 exec, exec, s[0:1]
	s_and_saveexec_b64 s[0:1], s[6:7]
	s_cbranch_execz .LBB23_37
.LBB23_52:
	global_store_dword v[2:3], v15, off offset:2048
	s_or_b64 exec, exec, s[0:1]
	s_and_saveexec_b64 s[0:1], s[8:9]
	s_cbranch_execz .LBB23_38
.LBB23_53:
	global_store_dword v[2:3], v12, off offset:3072
	s_or_b64 exec, exec, s[0:1]
	s_and_saveexec_b64 s[0:1], s[10:11]
	s_cbranch_execz .LBB23_39
.LBB23_54:
	v_add_co_u32_e32 v14, vcc, 0x1000, v2
	v_addc_co_u32_e32 v15, vcc, 0, v3, vcc
	global_store_dword v[14:15], v13, off
	s_or_b64 exec, exec, s[0:1]
	s_and_saveexec_b64 s[0:1], s[12:13]
	s_cbranch_execz .LBB23_40
.LBB23_55:
	v_add_co_u32_e32 v12, vcc, 0x1000, v2
	v_addc_co_u32_e32 v13, vcc, 0, v3, vcc
	global_store_dword v[12:13], v10, off offset:1024
	s_or_b64 exec, exec, s[0:1]
	s_and_saveexec_b64 s[0:1], s[14:15]
	s_cbranch_execz .LBB23_41
.LBB23_56:
	v_add_co_u32_e32 v12, vcc, 0x1000, v2
	v_addc_co_u32_e32 v13, vcc, 0, v3, vcc
	global_store_dword v[12:13], v11, off offset:2048
	s_or_b64 exec, exec, s[0:1]
	s_and_saveexec_b64 s[0:1], s[16:17]
	s_cbranch_execz .LBB23_42
.LBB23_57:
	v_add_co_u32_e32 v10, vcc, 0x1000, v2
	v_addc_co_u32_e32 v11, vcc, 0, v3, vcc
	global_store_dword v[10:11], v8, off offset:3072
	s_or_b64 exec, exec, s[0:1]
	s_and_saveexec_b64 s[0:1], s[18:19]
	s_cbranch_execz .LBB23_43
.LBB23_58:
	v_add_co_u32_e32 v10, vcc, 0x2000, v2
	v_addc_co_u32_e32 v11, vcc, 0, v3, vcc
	global_store_dword v[10:11], v9, off
	s_or_b64 exec, exec, s[0:1]
	s_and_saveexec_b64 s[0:1], s[20:21]
	s_cbranch_execz .LBB23_44
.LBB23_59:
	v_add_co_u32_e32 v8, vcc, 0x2000, v2
	v_addc_co_u32_e32 v9, vcc, 0, v3, vcc
	global_store_dword v[8:9], v6, off offset:1024
	s_or_b64 exec, exec, s[0:1]
	s_and_saveexec_b64 s[0:1], s[22:23]
	s_cbranch_execz .LBB23_45
.LBB23_60:
	v_add_co_u32_e32 v8, vcc, 0x2000, v2
	v_addc_co_u32_e32 v9, vcc, 0, v3, vcc
	global_store_dword v[8:9], v7, off offset:2048
	s_or_b64 exec, exec, s[0:1]
	s_and_saveexec_b64 s[0:1], s[24:25]
	s_cbranch_execz .LBB23_46
.LBB23_61:
	v_add_co_u32_e32 v6, vcc, 0x2000, v2
	v_addc_co_u32_e32 v7, vcc, 0, v3, vcc
	global_store_dword v[6:7], v4, off offset:3072
	s_or_b64 exec, exec, s[0:1]
	s_and_saveexec_b64 s[0:1], s[26:27]
	s_cbranch_execz .LBB23_47
.LBB23_62:
	v_add_co_u32_e32 v6, vcc, 0x3000, v2
	v_addc_co_u32_e32 v7, vcc, 0, v3, vcc
	global_store_dword v[6:7], v5, off
	s_or_b64 exec, exec, s[0:1]
	s_and_saveexec_b64 s[0:1], s[28:29]
	s_cbranch_execz .LBB23_48
.LBB23_63:
	v_add_co_u32_e32 v4, vcc, 0x3000, v2
	v_addc_co_u32_e32 v5, vcc, 0, v3, vcc
	global_store_dword v[4:5], v0, off offset:1024
	s_or_b64 exec, exec, s[0:1]
	s_and_saveexec_b64 s[0:1], s[30:31]
	s_cbranch_execz .LBB23_49
.LBB23_64:
	v_add_co_u32_e32 v2, vcc, 0x3000, v2
	v_addc_co_u32_e32 v3, vcc, 0, v3, vcc
	global_store_dword v[2:3], v1, off offset:2048
	s_endpgm
	.section	.rodata,"a",@progbits
	.p2align	6, 0x0
	.amdhsa_kernel _ZN7rocprim17ROCPRIM_304000_NS6detail18single_scan_kernelILb0ENS1_19wrapped_scan_configINS0_14default_configEiEEPKiPiSt10multipliesIiEiiEEvT1_mT4_T2_T3_
		.amdhsa_group_segment_fixed_size 15360
		.amdhsa_private_segment_fixed_size 0
		.amdhsa_kernarg_size 36
		.amdhsa_user_sgpr_count 6
		.amdhsa_user_sgpr_private_segment_buffer 1
		.amdhsa_user_sgpr_dispatch_ptr 0
		.amdhsa_user_sgpr_queue_ptr 0
		.amdhsa_user_sgpr_kernarg_segment_ptr 1
		.amdhsa_user_sgpr_dispatch_id 0
		.amdhsa_user_sgpr_flat_scratch_init 0
		.amdhsa_user_sgpr_private_segment_size 0
		.amdhsa_uses_dynamic_stack 0
		.amdhsa_system_sgpr_private_segment_wavefront_offset 0
		.amdhsa_system_sgpr_workgroup_id_x 1
		.amdhsa_system_sgpr_workgroup_id_y 0
		.amdhsa_system_sgpr_workgroup_id_z 0
		.amdhsa_system_sgpr_workgroup_info 0
		.amdhsa_system_vgpr_workitem_id 0
		.amdhsa_next_free_vgpr 49
		.amdhsa_next_free_sgpr 98
		.amdhsa_reserve_vcc 1
		.amdhsa_reserve_flat_scratch 0
		.amdhsa_float_round_mode_32 0
		.amdhsa_float_round_mode_16_64 0
		.amdhsa_float_denorm_mode_32 3
		.amdhsa_float_denorm_mode_16_64 3
		.amdhsa_dx10_clamp 1
		.amdhsa_ieee_mode 1
		.amdhsa_fp16_overflow 0
		.amdhsa_exception_fp_ieee_invalid_op 0
		.amdhsa_exception_fp_denorm_src 0
		.amdhsa_exception_fp_ieee_div_zero 0
		.amdhsa_exception_fp_ieee_overflow 0
		.amdhsa_exception_fp_ieee_underflow 0
		.amdhsa_exception_fp_ieee_inexact 0
		.amdhsa_exception_int_div_zero 0
	.end_amdhsa_kernel
	.section	.text._ZN7rocprim17ROCPRIM_304000_NS6detail18single_scan_kernelILb0ENS1_19wrapped_scan_configINS0_14default_configEiEEPKiPiSt10multipliesIiEiiEEvT1_mT4_T2_T3_,"axG",@progbits,_ZN7rocprim17ROCPRIM_304000_NS6detail18single_scan_kernelILb0ENS1_19wrapped_scan_configINS0_14default_configEiEEPKiPiSt10multipliesIiEiiEEvT1_mT4_T2_T3_,comdat
.Lfunc_end23:
	.size	_ZN7rocprim17ROCPRIM_304000_NS6detail18single_scan_kernelILb0ENS1_19wrapped_scan_configINS0_14default_configEiEEPKiPiSt10multipliesIiEiiEEvT1_mT4_T2_T3_, .Lfunc_end23-_ZN7rocprim17ROCPRIM_304000_NS6detail18single_scan_kernelILb0ENS1_19wrapped_scan_configINS0_14default_configEiEEPKiPiSt10multipliesIiEiiEEvT1_mT4_T2_T3_
                                        ; -- End function
	.set _ZN7rocprim17ROCPRIM_304000_NS6detail18single_scan_kernelILb0ENS1_19wrapped_scan_configINS0_14default_configEiEEPKiPiSt10multipliesIiEiiEEvT1_mT4_T2_T3_.num_vgpr, 40
	.set _ZN7rocprim17ROCPRIM_304000_NS6detail18single_scan_kernelILb0ENS1_19wrapped_scan_configINS0_14default_configEiEEPKiPiSt10multipliesIiEiiEEvT1_mT4_T2_T3_.num_agpr, 0
	.set _ZN7rocprim17ROCPRIM_304000_NS6detail18single_scan_kernelILb0ENS1_19wrapped_scan_configINS0_14default_configEiEEPKiPiSt10multipliesIiEiiEEvT1_mT4_T2_T3_.numbered_sgpr, 36
	.set _ZN7rocprim17ROCPRIM_304000_NS6detail18single_scan_kernelILb0ENS1_19wrapped_scan_configINS0_14default_configEiEEPKiPiSt10multipliesIiEiiEEvT1_mT4_T2_T3_.num_named_barrier, 0
	.set _ZN7rocprim17ROCPRIM_304000_NS6detail18single_scan_kernelILb0ENS1_19wrapped_scan_configINS0_14default_configEiEEPKiPiSt10multipliesIiEiiEEvT1_mT4_T2_T3_.private_seg_size, 0
	.set _ZN7rocprim17ROCPRIM_304000_NS6detail18single_scan_kernelILb0ENS1_19wrapped_scan_configINS0_14default_configEiEEPKiPiSt10multipliesIiEiiEEvT1_mT4_T2_T3_.uses_vcc, 1
	.set _ZN7rocprim17ROCPRIM_304000_NS6detail18single_scan_kernelILb0ENS1_19wrapped_scan_configINS0_14default_configEiEEPKiPiSt10multipliesIiEiiEEvT1_mT4_T2_T3_.uses_flat_scratch, 0
	.set _ZN7rocprim17ROCPRIM_304000_NS6detail18single_scan_kernelILb0ENS1_19wrapped_scan_configINS0_14default_configEiEEPKiPiSt10multipliesIiEiiEEvT1_mT4_T2_T3_.has_dyn_sized_stack, 0
	.set _ZN7rocprim17ROCPRIM_304000_NS6detail18single_scan_kernelILb0ENS1_19wrapped_scan_configINS0_14default_configEiEEPKiPiSt10multipliesIiEiiEEvT1_mT4_T2_T3_.has_recursion, 0
	.set _ZN7rocprim17ROCPRIM_304000_NS6detail18single_scan_kernelILb0ENS1_19wrapped_scan_configINS0_14default_configEiEEPKiPiSt10multipliesIiEiiEEvT1_mT4_T2_T3_.has_indirect_call, 0
	.section	.AMDGPU.csdata,"",@progbits
; Kernel info:
; codeLenInByte = 2500
; TotalNumSgprs: 40
; NumVgprs: 40
; ScratchSize: 0
; MemoryBound: 0
; FloatMode: 240
; IeeeMode: 1
; LDSByteSize: 15360 bytes/workgroup (compile time only)
; SGPRBlocks: 12
; VGPRBlocks: 12
; NumSGPRsForWavesPerEU: 102
; NumVGPRsForWavesPerEU: 49
; Occupancy: 4
; WaveLimiterHint : 0
; COMPUTE_PGM_RSRC2:SCRATCH_EN: 0
; COMPUTE_PGM_RSRC2:USER_SGPR: 6
; COMPUTE_PGM_RSRC2:TRAP_HANDLER: 0
; COMPUTE_PGM_RSRC2:TGID_X_EN: 1
; COMPUTE_PGM_RSRC2:TGID_Y_EN: 0
; COMPUTE_PGM_RSRC2:TGID_Z_EN: 0
; COMPUTE_PGM_RSRC2:TIDIG_COMP_CNT: 0
	.section	.text._ZN2at6native32tensor_kernel_scan_innermost_dimIiSt10multipliesIiEEEvPT_PKS4_jjjS4_T0_,"axG",@progbits,_ZN2at6native32tensor_kernel_scan_innermost_dimIiSt10multipliesIiEEEvPT_PKS4_jjjS4_T0_,comdat
	.protected	_ZN2at6native32tensor_kernel_scan_innermost_dimIiSt10multipliesIiEEEvPT_PKS4_jjjS4_T0_ ; -- Begin function _ZN2at6native32tensor_kernel_scan_innermost_dimIiSt10multipliesIiEEEvPT_PKS4_jjjS4_T0_
	.globl	_ZN2at6native32tensor_kernel_scan_innermost_dimIiSt10multipliesIiEEEvPT_PKS4_jjjS4_T0_
	.p2align	8
	.type	_ZN2at6native32tensor_kernel_scan_innermost_dimIiSt10multipliesIiEEEvPT_PKS4_jjjS4_T0_,@function
_ZN2at6native32tensor_kernel_scan_innermost_dimIiSt10multipliesIiEEEvPT_PKS4_jjjS4_T0_: ; @_ZN2at6native32tensor_kernel_scan_innermost_dimIiSt10multipliesIiEEEvPT_PKS4_jjjS4_T0_
; %bb.0:
	s_load_dwordx8 s[12:19], s[4:5], 0x0
	v_mov_b32_e32 v2, v1
	s_waitcnt lgkmcnt(0)
	s_lshl_b32 s7, 2, s18
	v_mul_lo_u32 v1, s7, v2
	s_mul_hi_u32 s0, s16, s17
	s_cmp_lg_u32 s0, 0
	s_mov_b64 s[0:1], -1
	v_lshl_add_u32 v10, v1, 2, 0
	s_cbranch_scc1 .LBB24_26
; %bb.1:
	s_load_dword s2, s[4:5], 0x34
	s_add_u32 s0, s4, 40
	s_addc_u32 s1, s5, 0
	s_waitcnt lgkmcnt(0)
	s_lshr_b32 s2, s2, 16
	s_mul_i32 s24, s6, s2
	s_cmp_ge_u32 s24, s16
	s_cbranch_scc1 .LBB24_25
; %bb.2:
	s_load_dword s26, s[0:1], 0x0
	s_lshl_b32 s25, 1, s18
	s_cmp_lg_u32 s17, 0
	s_cselect_b64 s[8:9], -1, 0
	v_lshl_add_u32 v1, v0, 2, v10
	s_lshl_b32 s3, s7, 2
	v_cndmask_b32_e64 v3, 0, 1, s[8:9]
	v_lshl_add_u32 v7, s25, 2, v1
	v_cmp_eq_u32_e64 s[0:1], 0, v0
	v_add3_u32 v8, v10, s3, -4
	s_waitcnt lgkmcnt(0)
	s_mul_i32 s26, s26, s2
	s_add_i32 s27, s18, 1
	v_cmp_ne_u32_e64 s[2:3], 1, v3
	v_mov_b32_e32 v4, 0
	s_branch .LBB24_4
.LBB24_3:                               ;   in Loop: Header=BB24_4 Depth=1
	s_add_i32 s24, s24, s26
	s_cmp_ge_u32 s24, s16
	s_cbranch_scc1 .LBB24_25
.LBB24_4:                               ; =>This Loop Header: Depth=1
                                        ;     Child Loop BB24_7 Depth 2
                                        ;       Child Loop BB24_16 Depth 3
	s_and_b64 vcc, exec, s[2:3]
	s_cbranch_vccnz .LBB24_3
; %bb.5:                                ;   in Loop: Header=BB24_4 Depth=1
	v_add_u32_e32 v14, s24, v2
	v_mul_lo_u32 v3, v14, s17
	v_mov_b32_e32 v11, s15
	v_cmp_le_u32_e64 s[8:9], s16, v14
	s_mov_b32 s28, 0
	v_lshlrev_b64 v[5:6], 2, v[3:4]
	v_mov_b32_e32 v3, s13
	v_add_co_u32_e32 v9, vcc, s14, v5
	v_addc_co_u32_e32 v11, vcc, v11, v6, vcc
	v_add_co_u32_e32 v12, vcc, s12, v5
	v_addc_co_u32_e32 v13, vcc, v3, v6, vcc
	v_cmp_gt_u32_e32 vcc, s16, v14
	v_mov_b32_e32 v14, s19
	s_branch .LBB24_7
.LBB24_6:                               ;   in Loop: Header=BB24_7 Depth=2
	s_or_b64 exec, exec, s[20:21]
	ds_read_b32 v14, v8
	s_add_i32 s28, s28, s7
	s_cmp_ge_u32 s28, s17
	s_waitcnt vmcnt(0) lgkmcnt(0)
	s_barrier
	s_cbranch_scc1 .LBB24_3
.LBB24_7:                               ;   Parent Loop BB24_4 Depth=1
                                        ; =>  This Loop Header: Depth=2
                                        ;       Child Loop BB24_16 Depth 3
	v_add_u32_e32 v3, s28, v0
	v_add_u32_e32 v5, s25, v3
	s_and_saveexec_b64 s[20:21], vcc
	s_cbranch_execz .LBB24_14
; %bb.8:                                ;   in Loop: Header=BB24_7 Depth=2
	v_cmp_gt_u32_e64 s[10:11], s17, v3
	v_mov_b32_e32 v6, s19
	s_and_saveexec_b64 s[22:23], s[10:11]
	s_cbranch_execz .LBB24_10
; %bb.9:                                ;   in Loop: Header=BB24_7 Depth=2
	v_lshlrev_b64 v[15:16], 2, v[3:4]
	v_add_co_u32_e64 v15, s[10:11], v9, v15
	v_addc_co_u32_e64 v16, s[10:11], v11, v16, s[10:11]
	global_load_dword v6, v[15:16], off
.LBB24_10:                              ;   in Loop: Header=BB24_7 Depth=2
	s_or_b64 exec, exec, s[22:23]
	s_waitcnt vmcnt(0)
	ds_write_b32 v1, v6
	v_cmp_gt_u32_e64 s[10:11], s17, v5
	v_mov_b32_e32 v6, s19
	s_and_saveexec_b64 s[22:23], s[10:11]
	s_cbranch_execz .LBB24_12
; %bb.11:                               ;   in Loop: Header=BB24_7 Depth=2
	v_mov_b32_e32 v6, v4
	v_lshlrev_b64 v[15:16], 2, v[5:6]
	v_add_co_u32_e64 v15, s[10:11], v9, v15
	v_addc_co_u32_e64 v16, s[10:11], v11, v16, s[10:11]
	global_load_dword v6, v[15:16], off
.LBB24_12:                              ;   in Loop: Header=BB24_7 Depth=2
	s_or_b64 exec, exec, s[22:23]
	s_waitcnt vmcnt(0)
	ds_write_b32 v7, v6
	s_and_b64 exec, exec, s[0:1]
	s_cbranch_execz .LBB24_14
; %bb.13:                               ;   in Loop: Header=BB24_7 Depth=2
	ds_read_b32 v6, v10
	s_waitcnt lgkmcnt(0)
	v_mul_lo_u32 v6, v6, v14
	ds_write_b32 v10, v6
.LBB24_14:                              ;   in Loop: Header=BB24_7 Depth=2
	s_or_b64 exec, exec, s[20:21]
	v_mov_b32_e32 v6, 0
	s_mov_b64 s[20:21], 0
	s_waitcnt lgkmcnt(0)
	s_barrier
	s_branch .LBB24_16
.LBB24_15:                              ;   in Loop: Header=BB24_16 Depth=3
	s_or_b64 exec, exec, s[10:11]
	v_cmp_eq_u32_e64 s[10:11], s27, v6
	s_or_b64 s[20:21], s[10:11], s[20:21]
	s_waitcnt lgkmcnt(0)
	s_barrier
	s_andn2_b64 exec, exec, s[20:21]
	s_cbranch_execz .LBB24_20
.LBB24_16:                              ;   Parent Loop BB24_4 Depth=1
                                        ;     Parent Loop BB24_7 Depth=2
                                        ; =>    This Inner Loop Header: Depth=3
	v_add_u32_e32 v14, 1, v6
	s_and_saveexec_b64 s[10:11], s[8:9]
	s_xor_b64 s[10:11], exec, s[10:11]
; %bb.17:                               ;   in Loop: Header=BB24_16 Depth=3
	v_add_u32_e32 v6, 1, v6
                                        ; implicit-def: $vgpr14
; %bb.18:                               ;   in Loop: Header=BB24_16 Depth=3
	s_andn2_saveexec_b64 s[10:11], s[10:11]
	s_cbranch_execz .LBB24_15
; %bb.19:                               ;   in Loop: Header=BB24_16 Depth=3
	v_lshlrev_b32_e64 v15, v6, 1
	v_lshrrev_b32_e32 v16, v6, v0
	v_lshl_or_b32 v15, v16, v14, v15
	v_bfm_b32 v6, v6, 0
	v_and_b32_e32 v6, v6, v0
	v_lshl_add_u32 v15, v15, 2, v10
	v_lshl_add_u32 v6, v6, 2, v15
	v_add_u32_e32 v15, -4, v15
	ds_read_b32 v16, v6
	ds_read_b32 v15, v15
	s_waitcnt lgkmcnt(0)
	v_mul_lo_u32 v15, v15, v16
	ds_write_b32 v6, v15
	v_mov_b32_e32 v6, v14
	s_branch .LBB24_15
.LBB24_20:                              ;   in Loop: Header=BB24_7 Depth=2
	s_or_b64 exec, exec, s[20:21]
	s_and_saveexec_b64 s[20:21], vcc
	s_cbranch_execz .LBB24_6
; %bb.21:                               ;   in Loop: Header=BB24_7 Depth=2
	v_cmp_gt_u32_e64 s[10:11], s17, v3
	s_and_saveexec_b64 s[22:23], s[10:11]
	s_cbranch_execz .LBB24_23
; %bb.22:                               ;   in Loop: Header=BB24_7 Depth=2
	v_lshlrev_b64 v[14:15], 2, v[3:4]
	ds_read_b32 v3, v1
	v_add_co_u32_e64 v14, s[10:11], v12, v14
	v_addc_co_u32_e64 v15, s[10:11], v13, v15, s[10:11]
	s_waitcnt lgkmcnt(0)
	global_store_dword v[14:15], v3, off
.LBB24_23:                              ;   in Loop: Header=BB24_7 Depth=2
	s_or_b64 exec, exec, s[22:23]
	v_cmp_gt_u32_e64 s[10:11], s17, v5
	s_and_b64 exec, exec, s[10:11]
	s_cbranch_execz .LBB24_6
; %bb.24:                               ;   in Loop: Header=BB24_7 Depth=2
	v_mov_b32_e32 v6, v4
	ds_read_b32 v3, v7
	v_lshlrev_b64 v[5:6], 2, v[5:6]
	v_add_co_u32_e64 v5, s[10:11], v12, v5
	v_addc_co_u32_e64 v6, s[10:11], v13, v6, s[10:11]
	s_waitcnt lgkmcnt(0)
	global_store_dword v[5:6], v3, off
	s_branch .LBB24_6
.LBB24_25:
	s_mov_b64 s[0:1], 0
.LBB24_26:
	s_andn2_b64 vcc, exec, s[0:1]
	s_cbranch_vccnz .LBB24_53
; %bb.27:
	s_load_dword s2, s[4:5], 0x34
	s_add_u32 s0, s4, 40
	s_mov_b32 s8, s16
	s_mov_b32 s9, 0
	s_addc_u32 s1, s5, 0
	s_waitcnt lgkmcnt(0)
	s_lshr_b32 s2, s2, 16
	v_mov_b32_e32 v3, s8
	s_mul_hi_u32 s11, s2, s6
	s_mul_i32 s10, s2, s6
	v_mov_b32_e32 v4, s9
	v_cmp_ge_u64_e32 vcc, s[10:11], v[3:4]
	s_cbranch_vccnz .LBB24_53
; %bb.28:
	s_lshl_b32 s20, 1, s18
	s_load_dword s5, s[0:1], 0x0
	s_and_b32 s4, 0xffff, s2
	s_ashr_i32 s21, s20, 31
	s_cmp_lg_u32 s17, 0
	s_mov_b32 s22, s17
	s_cselect_b64 s[2:3], -1, 0
	s_lshl_b64 s[16:17], s[20:21], 1
	v_lshl_add_u32 v11, v0, 2, v10
	s_lshl_b32 s6, s16, 2
	v_cndmask_b32_e64 v3, 0, 1, s[2:3]
	v_mov_b32_e32 v1, 0
	s_mov_b32 s23, s9
	v_lshl_add_u32 v12, s20, 2, v11
	v_cmp_eq_u32_e64 s[0:1], 0, v0
	v_add3_u32 v13, v10, s6, -4
	s_waitcnt lgkmcnt(0)
	s_mul_i32 s33, s5, s4
	s_add_i32 s18, s18, 1
	v_cmp_ne_u32_e64 s[2:3], 1, v3
	s_branch .LBB24_30
.LBB24_29:                              ;   in Loop: Header=BB24_30 Depth=1
	s_add_u32 s10, s10, s33
	v_mov_b32_e32 v3, s8
	s_addc_u32 s11, s11, 0
	v_mov_b32_e32 v4, s9
	v_cmp_ge_u64_e32 vcc, s[10:11], v[3:4]
	s_cbranch_vccnz .LBB24_53
.LBB24_30:                              ; =>This Loop Header: Depth=1
                                        ;     Child Loop BB24_33 Depth 2
                                        ;       Child Loop BB24_43 Depth 3
	s_and_b64 vcc, exec, s[2:3]
	s_cbranch_vccnz .LBB24_29
; %bb.31:                               ;   in Loop: Header=BB24_30 Depth=1
	v_add_co_u32_e32 v3, vcc, s10, v2
	v_mad_u64_u32 v[5:6], s[4:5], v3, s22, 0
	v_mov_b32_e32 v4, s11
	v_addc_co_u32_e32 v4, vcc, 0, v4, vcc
	v_mad_u64_u32 v[6:7], s[4:5], v4, s22, v[6:7]
	v_mov_b32_e32 v7, s15
	v_cmp_gt_u64_e64 s[4:5], s[8:9], v[3:4]
	v_lshlrev_b64 v[5:6], 2, v[5:6]
	v_cmp_le_u64_e64 s[6:7], s[8:9], v[3:4]
	v_add_co_u32_e32 v14, vcc, s14, v5
	v_addc_co_u32_e32 v15, vcc, v7, v6, vcc
	v_mov_b32_e32 v7, s13
	v_add_co_u32_e32 v16, vcc, s12, v5
	v_addc_co_u32_e32 v17, vcc, v7, v6, vcc
	s_mov_b64 s[24:25], 0
	v_mov_b32_e32 v7, s19
	s_branch .LBB24_33
.LBB24_32:                              ;   in Loop: Header=BB24_33 Depth=2
	s_or_b64 exec, exec, s[26:27]
	ds_read_b32 v7, v13
	s_add_u32 s24, s24, s16
	v_mov_b32_e32 v3, s22
	s_addc_u32 s25, s25, s17
	v_mov_b32_e32 v4, s23
	v_cmp_ge_u64_e32 vcc, s[24:25], v[3:4]
	s_waitcnt lgkmcnt(0)
	s_waitcnt vmcnt(0)
	s_barrier
	s_cbranch_vccnz .LBB24_29
.LBB24_33:                              ;   Parent Loop BB24_30 Depth=1
                                        ; =>  This Loop Header: Depth=2
                                        ;       Child Loop BB24_43 Depth 3
	v_mov_b32_e32 v3, s25
	v_add_co_u32_e32 v5, vcc, s24, v0
	v_addc_co_u32_e32 v6, vcc, 0, v3, vcc
	v_mov_b32_e32 v4, s21
	v_add_co_u32_e32 v3, vcc, s20, v5
	v_addc_co_u32_e32 v4, vcc, v6, v4, vcc
	s_and_saveexec_b64 s[26:27], s[4:5]
	s_cbranch_execz .LBB24_40
; %bb.34:                               ;   in Loop: Header=BB24_33 Depth=2
	v_cmp_gt_u64_e32 vcc, s[22:23], v[5:6]
	v_mov_b32_e32 v8, s19
	s_and_saveexec_b64 s[28:29], vcc
	s_cbranch_execz .LBB24_36
; %bb.35:                               ;   in Loop: Header=BB24_33 Depth=2
	v_lshlrev_b64 v[8:9], 2, v[5:6]
	v_add_co_u32_e32 v8, vcc, v14, v8
	v_addc_co_u32_e32 v9, vcc, v15, v9, vcc
	global_load_dword v8, v[8:9], off
.LBB24_36:                              ;   in Loop: Header=BB24_33 Depth=2
	s_or_b64 exec, exec, s[28:29]
	v_cmp_gt_u64_e32 vcc, s[22:23], v[3:4]
	s_waitcnt vmcnt(0)
	ds_write_b32 v11, v8
	v_mov_b32_e32 v8, s19
	s_and_saveexec_b64 s[28:29], vcc
	s_cbranch_execz .LBB24_38
; %bb.37:                               ;   in Loop: Header=BB24_33 Depth=2
	v_lshlrev_b64 v[8:9], 2, v[3:4]
	v_add_co_u32_e32 v8, vcc, v14, v8
	v_addc_co_u32_e32 v9, vcc, v15, v9, vcc
	global_load_dword v8, v[8:9], off
.LBB24_38:                              ;   in Loop: Header=BB24_33 Depth=2
	s_or_b64 exec, exec, s[28:29]
	s_waitcnt vmcnt(0)
	ds_write_b32 v12, v8
	s_and_b64 exec, exec, s[0:1]
	s_cbranch_execz .LBB24_40
; %bb.39:                               ;   in Loop: Header=BB24_33 Depth=2
	ds_read_b32 v8, v10
	s_waitcnt lgkmcnt(0)
	v_mul_lo_u32 v7, v8, v7
	ds_write_b32 v10, v7
.LBB24_40:                              ;   in Loop: Header=BB24_33 Depth=2
	s_or_b64 exec, exec, s[26:27]
	v_mov_b32_e32 v19, 0
	s_mov_b64 s[26:27], 0
	s_waitcnt lgkmcnt(0)
	s_barrier
	s_branch .LBB24_43
.LBB24_41:                              ;   in Loop: Header=BB24_43 Depth=3
	s_or_b64 exec, exec, s[30:31]
	v_lshrrev_b32_e32 v9, v19, v0
	v_lshl_or_b32 v7, v9, v18, v7
	v_lshl_add_u32 v7, v7, 2, v10
	v_lshl_add_u32 v8, v8, 2, v7
	v_add_u32_e32 v7, -4, v7
	ds_read_b32 v9, v8
	ds_read_b32 v7, v7
	s_waitcnt lgkmcnt(0)
	v_mul_lo_u32 v7, v7, v9
	ds_write_b32 v8, v7
.LBB24_42:                              ;   in Loop: Header=BB24_43 Depth=3
	s_or_b64 exec, exec, s[28:29]
	v_cmp_eq_u32_e32 vcc, s18, v18
	s_or_b64 s[26:27], vcc, s[26:27]
	v_mov_b32_e32 v19, v18
	s_waitcnt lgkmcnt(0)
	s_barrier
	s_andn2_b64 exec, exec, s[26:27]
	s_cbranch_execz .LBB24_48
.LBB24_43:                              ;   Parent Loop BB24_30 Depth=1
                                        ;     Parent Loop BB24_33 Depth=2
                                        ; =>    This Inner Loop Header: Depth=3
	v_add_u32_e32 v18, 1, v19
	s_and_saveexec_b64 s[28:29], s[6:7]
	s_xor_b64 s[28:29], exec, s[28:29]
; %bb.44:                               ;   in Loop: Header=BB24_43 Depth=3
	v_add_u32_e32 v18, 1, v19
                                        ; implicit-def: $vgpr19
; %bb.45:                               ;   in Loop: Header=BB24_43 Depth=3
	s_andn2_saveexec_b64 s[28:29], s[28:29]
	s_cbranch_execz .LBB24_42
; %bb.46:                               ;   in Loop: Header=BB24_43 Depth=3
	v_lshlrev_b32_e64 v7, v19, 1
	v_ashrrev_i32_e32 v8, 31, v7
	v_cmp_ge_u64_e32 vcc, v[0:1], v[7:8]
	v_mov_b32_e32 v9, v1
	v_mov_b32_e32 v8, v0
	s_and_saveexec_b64 s[30:31], vcc
	s_cbranch_execz .LBB24_41
; %bb.47:                               ;   in Loop: Header=BB24_43 Depth=3
	v_cvt_f32_u32_e32 v8, v7
	v_sub_u32_e32 v9, 0, v7
	v_rcp_iflag_f32_e32 v8, v8
	v_mul_f32_e32 v8, 0x4f7ffffe, v8
	v_cvt_u32_f32_e32 v8, v8
	v_mul_lo_u32 v9, v9, v8
	v_mul_hi_u32 v9, v8, v9
	v_add_u32_e32 v8, v8, v9
	v_mul_hi_u32 v8, v0, v8
	v_mul_lo_u32 v8, v8, v7
	v_sub_u32_e32 v8, v0, v8
	v_sub_u32_e32 v9, v8, v7
	v_cmp_ge_u32_e32 vcc, v8, v7
	v_cndmask_b32_e32 v8, v8, v9, vcc
	v_sub_u32_e32 v9, v8, v7
	v_cmp_ge_u32_e32 vcc, v8, v7
	v_cndmask_b32_e32 v8, v8, v9, vcc
	s_branch .LBB24_41
.LBB24_48:                              ;   in Loop: Header=BB24_33 Depth=2
	s_or_b64 exec, exec, s[26:27]
	s_and_saveexec_b64 s[26:27], s[4:5]
	s_cbranch_execz .LBB24_32
; %bb.49:                               ;   in Loop: Header=BB24_33 Depth=2
	v_cmp_gt_u64_e32 vcc, s[22:23], v[5:6]
	s_and_saveexec_b64 s[28:29], vcc
	s_cbranch_execz .LBB24_51
; %bb.50:                               ;   in Loop: Header=BB24_33 Depth=2
	ds_read_b32 v7, v11
	v_lshlrev_b64 v[5:6], 2, v[5:6]
	v_add_co_u32_e32 v5, vcc, v16, v5
	v_addc_co_u32_e32 v6, vcc, v17, v6, vcc
	s_waitcnt lgkmcnt(0)
	global_store_dword v[5:6], v7, off
.LBB24_51:                              ;   in Loop: Header=BB24_33 Depth=2
	s_or_b64 exec, exec, s[28:29]
	v_cmp_gt_u64_e32 vcc, s[22:23], v[3:4]
	s_and_b64 exec, exec, vcc
	s_cbranch_execz .LBB24_32
; %bb.52:                               ;   in Loop: Header=BB24_33 Depth=2
	ds_read_b32 v5, v12
	v_lshlrev_b64 v[3:4], 2, v[3:4]
	v_add_co_u32_e32 v3, vcc, v16, v3
	v_addc_co_u32_e32 v4, vcc, v17, v4, vcc
	s_waitcnt lgkmcnt(0)
	global_store_dword v[3:4], v5, off
	s_branch .LBB24_32
.LBB24_53:
	s_endpgm
	.section	.rodata,"a",@progbits
	.p2align	6, 0x0
	.amdhsa_kernel _ZN2at6native32tensor_kernel_scan_innermost_dimIiSt10multipliesIiEEEvPT_PKS4_jjjS4_T0_
		.amdhsa_group_segment_fixed_size 0
		.amdhsa_private_segment_fixed_size 0
		.amdhsa_kernarg_size 296
		.amdhsa_user_sgpr_count 6
		.amdhsa_user_sgpr_private_segment_buffer 1
		.amdhsa_user_sgpr_dispatch_ptr 0
		.amdhsa_user_sgpr_queue_ptr 0
		.amdhsa_user_sgpr_kernarg_segment_ptr 1
		.amdhsa_user_sgpr_dispatch_id 0
		.amdhsa_user_sgpr_flat_scratch_init 0
		.amdhsa_user_sgpr_private_segment_size 0
		.amdhsa_uses_dynamic_stack 0
		.amdhsa_system_sgpr_private_segment_wavefront_offset 0
		.amdhsa_system_sgpr_workgroup_id_x 1
		.amdhsa_system_sgpr_workgroup_id_y 0
		.amdhsa_system_sgpr_workgroup_id_z 0
		.amdhsa_system_sgpr_workgroup_info 0
		.amdhsa_system_vgpr_workitem_id 1
		.amdhsa_next_free_vgpr 20
		.amdhsa_next_free_sgpr 34
		.amdhsa_reserve_vcc 1
		.amdhsa_reserve_flat_scratch 0
		.amdhsa_float_round_mode_32 0
		.amdhsa_float_round_mode_16_64 0
		.amdhsa_float_denorm_mode_32 3
		.amdhsa_float_denorm_mode_16_64 3
		.amdhsa_dx10_clamp 1
		.amdhsa_ieee_mode 1
		.amdhsa_fp16_overflow 0
		.amdhsa_exception_fp_ieee_invalid_op 0
		.amdhsa_exception_fp_denorm_src 0
		.amdhsa_exception_fp_ieee_div_zero 0
		.amdhsa_exception_fp_ieee_overflow 0
		.amdhsa_exception_fp_ieee_underflow 0
		.amdhsa_exception_fp_ieee_inexact 0
		.amdhsa_exception_int_div_zero 0
	.end_amdhsa_kernel
	.section	.text._ZN2at6native32tensor_kernel_scan_innermost_dimIiSt10multipliesIiEEEvPT_PKS4_jjjS4_T0_,"axG",@progbits,_ZN2at6native32tensor_kernel_scan_innermost_dimIiSt10multipliesIiEEEvPT_PKS4_jjjS4_T0_,comdat
.Lfunc_end24:
	.size	_ZN2at6native32tensor_kernel_scan_innermost_dimIiSt10multipliesIiEEEvPT_PKS4_jjjS4_T0_, .Lfunc_end24-_ZN2at6native32tensor_kernel_scan_innermost_dimIiSt10multipliesIiEEEvPT_PKS4_jjjS4_T0_
                                        ; -- End function
	.set _ZN2at6native32tensor_kernel_scan_innermost_dimIiSt10multipliesIiEEEvPT_PKS4_jjjS4_T0_.num_vgpr, 20
	.set _ZN2at6native32tensor_kernel_scan_innermost_dimIiSt10multipliesIiEEEvPT_PKS4_jjjS4_T0_.num_agpr, 0
	.set _ZN2at6native32tensor_kernel_scan_innermost_dimIiSt10multipliesIiEEEvPT_PKS4_jjjS4_T0_.numbered_sgpr, 34
	.set _ZN2at6native32tensor_kernel_scan_innermost_dimIiSt10multipliesIiEEEvPT_PKS4_jjjS4_T0_.num_named_barrier, 0
	.set _ZN2at6native32tensor_kernel_scan_innermost_dimIiSt10multipliesIiEEEvPT_PKS4_jjjS4_T0_.private_seg_size, 0
	.set _ZN2at6native32tensor_kernel_scan_innermost_dimIiSt10multipliesIiEEEvPT_PKS4_jjjS4_T0_.uses_vcc, 1
	.set _ZN2at6native32tensor_kernel_scan_innermost_dimIiSt10multipliesIiEEEvPT_PKS4_jjjS4_T0_.uses_flat_scratch, 0
	.set _ZN2at6native32tensor_kernel_scan_innermost_dimIiSt10multipliesIiEEEvPT_PKS4_jjjS4_T0_.has_dyn_sized_stack, 0
	.set _ZN2at6native32tensor_kernel_scan_innermost_dimIiSt10multipliesIiEEEvPT_PKS4_jjjS4_T0_.has_recursion, 0
	.set _ZN2at6native32tensor_kernel_scan_innermost_dimIiSt10multipliesIiEEEvPT_PKS4_jjjS4_T0_.has_indirect_call, 0
	.section	.AMDGPU.csdata,"",@progbits
; Kernel info:
; codeLenInByte = 1740
; TotalNumSgprs: 38
; NumVgprs: 20
; ScratchSize: 0
; MemoryBound: 0
; FloatMode: 240
; IeeeMode: 1
; LDSByteSize: 0 bytes/workgroup (compile time only)
; SGPRBlocks: 4
; VGPRBlocks: 4
; NumSGPRsForWavesPerEU: 38
; NumVGPRsForWavesPerEU: 20
; Occupancy: 10
; WaveLimiterHint : 0
; COMPUTE_PGM_RSRC2:SCRATCH_EN: 0
; COMPUTE_PGM_RSRC2:USER_SGPR: 6
; COMPUTE_PGM_RSRC2:TRAP_HANDLER: 0
; COMPUTE_PGM_RSRC2:TGID_X_EN: 1
; COMPUTE_PGM_RSRC2:TGID_Y_EN: 0
; COMPUTE_PGM_RSRC2:TGID_Z_EN: 0
; COMPUTE_PGM_RSRC2:TIDIG_COMP_CNT: 1
	.section	.text._ZN2at6native28tensor_kernel_scan_outer_dimIijSt10multipliesIiEEEvPT_PKS4_jjjS4_T1_,"axG",@progbits,_ZN2at6native28tensor_kernel_scan_outer_dimIijSt10multipliesIiEEEvPT_PKS4_jjjS4_T1_,comdat
	.protected	_ZN2at6native28tensor_kernel_scan_outer_dimIijSt10multipliesIiEEEvPT_PKS4_jjjS4_T1_ ; -- Begin function _ZN2at6native28tensor_kernel_scan_outer_dimIijSt10multipliesIiEEEvPT_PKS4_jjjS4_T1_
	.globl	_ZN2at6native28tensor_kernel_scan_outer_dimIijSt10multipliesIiEEEvPT_PKS4_jjjS4_T1_
	.p2align	8
	.type	_ZN2at6native28tensor_kernel_scan_outer_dimIijSt10multipliesIiEEEvPT_PKS4_jjjS4_T1_,@function
_ZN2at6native28tensor_kernel_scan_outer_dimIijSt10multipliesIiEEEvPT_PKS4_jjjS4_T1_: ; @_ZN2at6native28tensor_kernel_scan_outer_dimIijSt10multipliesIiEEEvPT_PKS4_jjjS4_T1_
; %bb.0:
	s_load_dwordx4 s[8:11], s[4:5], 0x10
	s_waitcnt lgkmcnt(0)
	s_cmp_ge_u32 s6, s8
	s_cbranch_scc1 .LBB25_9
; %bb.1:
	s_load_dword s0, s[4:5], 0x34
	s_load_dwordx4 s[12:15], s[4:5], 0x0
	s_load_dword s28, s[4:5], 0x28
	s_add_u32 s16, s4, 40
	s_addc_u32 s17, s5, 0
	s_waitcnt lgkmcnt(0)
	s_and_b32 s29, s0, 0xffff
	s_cmp_lg_u32 s10, 0
	s_mul_i32 s7, s7, s29
	s_cselect_b64 s[2:3], -1, 0
	s_mul_i32 s4, s6, s10
	v_add_u32_e32 v2, s7, v0
	s_mov_b32 s19, 0
	s_mov_b32 s18, s9
	s_mul_i32 s4, s4, s9
	s_mul_i32 s7, s28, s10
	v_cndmask_b32_e64 v0, 0, 1, s[2:3]
	v_cmp_gt_u32_e64 s[0:1], s9, v2
	s_mul_i32 s7, s7, s9
	s_lshl_b64 s[20:21], s[18:19], 2
	v_cmp_ne_u32_e64 s[2:3], 1, v0
	v_mov_b32_e32 v1, 0
	s_mov_b32 s18, s4
	s_branch .LBB25_3
.LBB25_2:                               ;   in Loop: Header=BB25_3 Depth=1
	s_or_b64 exec, exec, s[22:23]
	s_add_i32 s6, s28, s6
	s_add_i32 s18, s18, s7
	s_cmp_ge_u32 s6, s8
	s_cbranch_scc1 .LBB25_9
.LBB25_3:                               ; =>This Loop Header: Depth=1
                                        ;     Child Loop BB25_6 Depth 2
                                        ;       Child Loop BB25_8 Depth 3
	s_and_saveexec_b64 s[22:23], s[0:1]
	s_cbranch_execz .LBB25_2
; %bb.4:                                ;   in Loop: Header=BB25_3 Depth=1
	s_load_dword s30, s[16:17], 0x4
	s_lshl_b64 s[24:25], s[18:19], 2
	s_mov_b64 s[26:27], 0
	v_mov_b32_e32 v0, v2
	s_waitcnt lgkmcnt(0)
	s_mul_i32 s30, s30, s29
	s_branch .LBB25_6
.LBB25_5:                               ;   in Loop: Header=BB25_6 Depth=2
	v_add_u32_e32 v0, s30, v0
	v_cmp_le_u32_e32 vcc, s9, v0
	s_or_b64 s[26:27], vcc, s[26:27]
	s_andn2_b64 exec, exec, s[26:27]
	s_cbranch_execz .LBB25_2
.LBB25_6:                               ;   Parent Loop BB25_3 Depth=1
                                        ; =>  This Loop Header: Depth=2
                                        ;       Child Loop BB25_8 Depth 3
	s_and_b64 vcc, exec, s[2:3]
	s_cbranch_vccnz .LBB25_5
; %bb.7:                                ;   in Loop: Header=BB25_6 Depth=2
	v_lshlrev_b64 v[3:4], 2, v[0:1]
	v_mov_b32_e32 v5, s25
	v_add_co_u32_e32 v3, vcc, s24, v3
	v_addc_co_u32_e32 v4, vcc, v5, v4, vcc
	v_mov_b32_e32 v5, s11
	s_mov_b32 s31, s10
.LBB25_8:                               ;   Parent Loop BB25_3 Depth=1
                                        ;     Parent Loop BB25_6 Depth=2
                                        ; =>    This Inner Loop Header: Depth=3
	v_mov_b32_e32 v7, s15
	v_add_co_u32_e32 v6, vcc, s14, v3
	v_addc_co_u32_e32 v7, vcc, v7, v4, vcc
	global_load_dword v8, v[6:7], off
	v_mov_b32_e32 v7, s13
	v_add_co_u32_e32 v6, vcc, s12, v3
	s_add_i32 s31, s31, -1
	v_mov_b32_e32 v9, s21
	v_add_co_u32_e64 v3, s[4:5], s20, v3
	v_addc_co_u32_e32 v7, vcc, v7, v4, vcc
	v_addc_co_u32_e64 v4, vcc, v4, v9, s[4:5]
	s_cmp_eq_u32 s31, 0
	s_waitcnt vmcnt(0)
	v_mul_lo_u32 v5, v8, v5
	global_store_dword v[6:7], v5, off
	s_cbranch_scc0 .LBB25_8
	s_branch .LBB25_5
.LBB25_9:
	s_endpgm
	.section	.rodata,"a",@progbits
	.p2align	6, 0x0
	.amdhsa_kernel _ZN2at6native28tensor_kernel_scan_outer_dimIijSt10multipliesIiEEEvPT_PKS4_jjjS4_T1_
		.amdhsa_group_segment_fixed_size 0
		.amdhsa_private_segment_fixed_size 0
		.amdhsa_kernarg_size 296
		.amdhsa_user_sgpr_count 6
		.amdhsa_user_sgpr_private_segment_buffer 1
		.amdhsa_user_sgpr_dispatch_ptr 0
		.amdhsa_user_sgpr_queue_ptr 0
		.amdhsa_user_sgpr_kernarg_segment_ptr 1
		.amdhsa_user_sgpr_dispatch_id 0
		.amdhsa_user_sgpr_flat_scratch_init 0
		.amdhsa_user_sgpr_private_segment_size 0
		.amdhsa_uses_dynamic_stack 0
		.amdhsa_system_sgpr_private_segment_wavefront_offset 0
		.amdhsa_system_sgpr_workgroup_id_x 1
		.amdhsa_system_sgpr_workgroup_id_y 1
		.amdhsa_system_sgpr_workgroup_id_z 0
		.amdhsa_system_sgpr_workgroup_info 0
		.amdhsa_system_vgpr_workitem_id 0
		.amdhsa_next_free_vgpr 10
		.amdhsa_next_free_sgpr 32
		.amdhsa_reserve_vcc 1
		.amdhsa_reserve_flat_scratch 0
		.amdhsa_float_round_mode_32 0
		.amdhsa_float_round_mode_16_64 0
		.amdhsa_float_denorm_mode_32 3
		.amdhsa_float_denorm_mode_16_64 3
		.amdhsa_dx10_clamp 1
		.amdhsa_ieee_mode 1
		.amdhsa_fp16_overflow 0
		.amdhsa_exception_fp_ieee_invalid_op 0
		.amdhsa_exception_fp_denorm_src 0
		.amdhsa_exception_fp_ieee_div_zero 0
		.amdhsa_exception_fp_ieee_overflow 0
		.amdhsa_exception_fp_ieee_underflow 0
		.amdhsa_exception_fp_ieee_inexact 0
		.amdhsa_exception_int_div_zero 0
	.end_amdhsa_kernel
	.section	.text._ZN2at6native28tensor_kernel_scan_outer_dimIijSt10multipliesIiEEEvPT_PKS4_jjjS4_T1_,"axG",@progbits,_ZN2at6native28tensor_kernel_scan_outer_dimIijSt10multipliesIiEEEvPT_PKS4_jjjS4_T1_,comdat
.Lfunc_end25:
	.size	_ZN2at6native28tensor_kernel_scan_outer_dimIijSt10multipliesIiEEEvPT_PKS4_jjjS4_T1_, .Lfunc_end25-_ZN2at6native28tensor_kernel_scan_outer_dimIijSt10multipliesIiEEEvPT_PKS4_jjjS4_T1_
                                        ; -- End function
	.set _ZN2at6native28tensor_kernel_scan_outer_dimIijSt10multipliesIiEEEvPT_PKS4_jjjS4_T1_.num_vgpr, 10
	.set _ZN2at6native28tensor_kernel_scan_outer_dimIijSt10multipliesIiEEEvPT_PKS4_jjjS4_T1_.num_agpr, 0
	.set _ZN2at6native28tensor_kernel_scan_outer_dimIijSt10multipliesIiEEEvPT_PKS4_jjjS4_T1_.numbered_sgpr, 32
	.set _ZN2at6native28tensor_kernel_scan_outer_dimIijSt10multipliesIiEEEvPT_PKS4_jjjS4_T1_.num_named_barrier, 0
	.set _ZN2at6native28tensor_kernel_scan_outer_dimIijSt10multipliesIiEEEvPT_PKS4_jjjS4_T1_.private_seg_size, 0
	.set _ZN2at6native28tensor_kernel_scan_outer_dimIijSt10multipliesIiEEEvPT_PKS4_jjjS4_T1_.uses_vcc, 1
	.set _ZN2at6native28tensor_kernel_scan_outer_dimIijSt10multipliesIiEEEvPT_PKS4_jjjS4_T1_.uses_flat_scratch, 0
	.set _ZN2at6native28tensor_kernel_scan_outer_dimIijSt10multipliesIiEEEvPT_PKS4_jjjS4_T1_.has_dyn_sized_stack, 0
	.set _ZN2at6native28tensor_kernel_scan_outer_dimIijSt10multipliesIiEEEvPT_PKS4_jjjS4_T1_.has_recursion, 0
	.set _ZN2at6native28tensor_kernel_scan_outer_dimIijSt10multipliesIiEEEvPT_PKS4_jjjS4_T1_.has_indirect_call, 0
	.section	.AMDGPU.csdata,"",@progbits
; Kernel info:
; codeLenInByte = 352
; TotalNumSgprs: 36
; NumVgprs: 10
; ScratchSize: 0
; MemoryBound: 0
; FloatMode: 240
; IeeeMode: 1
; LDSByteSize: 0 bytes/workgroup (compile time only)
; SGPRBlocks: 4
; VGPRBlocks: 2
; NumSGPRsForWavesPerEU: 36
; NumVGPRsForWavesPerEU: 10
; Occupancy: 10
; WaveLimiterHint : 0
; COMPUTE_PGM_RSRC2:SCRATCH_EN: 0
; COMPUTE_PGM_RSRC2:USER_SGPR: 6
; COMPUTE_PGM_RSRC2:TRAP_HANDLER: 0
; COMPUTE_PGM_RSRC2:TGID_X_EN: 1
; COMPUTE_PGM_RSRC2:TGID_Y_EN: 1
; COMPUTE_PGM_RSRC2:TGID_Z_EN: 0
; COMPUTE_PGM_RSRC2:TIDIG_COMP_CNT: 0
	.section	.text._ZN2at6native28tensor_kernel_scan_outer_dimIimSt10multipliesIiEEEvPT_PKS4_jjjS4_T1_,"axG",@progbits,_ZN2at6native28tensor_kernel_scan_outer_dimIimSt10multipliesIiEEEvPT_PKS4_jjjS4_T1_,comdat
	.protected	_ZN2at6native28tensor_kernel_scan_outer_dimIimSt10multipliesIiEEEvPT_PKS4_jjjS4_T1_ ; -- Begin function _ZN2at6native28tensor_kernel_scan_outer_dimIimSt10multipliesIiEEEvPT_PKS4_jjjS4_T1_
	.globl	_ZN2at6native28tensor_kernel_scan_outer_dimIimSt10multipliesIiEEEvPT_PKS4_jjjS4_T1_
	.p2align	8
	.type	_ZN2at6native28tensor_kernel_scan_outer_dimIimSt10multipliesIiEEEvPT_PKS4_jjjS4_T1_,@function
_ZN2at6native28tensor_kernel_scan_outer_dimIimSt10multipliesIiEEEvPT_PKS4_jjjS4_T1_: ; @_ZN2at6native28tensor_kernel_scan_outer_dimIimSt10multipliesIiEEEvPT_PKS4_jjjS4_T1_
; %bb.0:
	s_load_dwordx4 s[8:11], s[4:5], 0x10
	s_waitcnt lgkmcnt(0)
	s_cmp_ge_u32 s6, s8
	s_cbranch_scc1 .LBB26_9
; %bb.1:
	s_load_dword s0, s[4:5], 0x34
	s_load_dwordx4 s[12:15], s[4:5], 0x0
	s_load_dword s26, s[4:5], 0x28
	s_add_u32 s16, s4, 40
	s_addc_u32 s17, s5, 0
	s_waitcnt lgkmcnt(0)
	s_and_b32 s27, s0, 0xffff
	s_cmp_lg_u32 s10, 0
	s_mul_i32 s7, s7, s27
	s_cselect_b64 s[4:5], -1, 0
	v_add_u32_e32 v2, s7, v0
	s_mov_b32 s3, 0
	s_mov_b32 s2, s9
	s_mul_hi_u32 s19, s10, s9
	s_mul_i32 s18, s10, s9
	v_cndmask_b32_e64 v0, 0, 1, s[4:5]
	v_cmp_gt_u32_e64 s[0:1], s9, v2
	s_lshl_b64 s[18:19], s[18:19], 2
	s_lshl_b64 s[20:21], s[2:3], 2
	v_cmp_ne_u32_e64 s[2:3], 1, v0
	v_mov_b32_e32 v1, 0
	s_branch .LBB26_3
.LBB26_2:                               ;   in Loop: Header=BB26_3 Depth=1
	s_or_b64 exec, exec, s[22:23]
	s_add_i32 s6, s6, s26
	s_cmp_ge_u32 s6, s8
	s_cbranch_scc1 .LBB26_9
.LBB26_3:                               ; =>This Loop Header: Depth=1
                                        ;     Child Loop BB26_6 Depth 2
                                        ;       Child Loop BB26_8 Depth 3
	s_and_saveexec_b64 s[22:23], s[0:1]
	s_cbranch_execz .LBB26_2
; %bb.4:                                ;   in Loop: Header=BB26_3 Depth=1
	s_load_dword s29, s[16:17], 0x4
	s_mul_i32 s4, s19, s6
	s_mul_hi_u32 s5, s18, s6
	s_mul_i32 s7, s18, s6
	s_add_i32 s28, s5, s4
	s_waitcnt lgkmcnt(0)
	s_mul_i32 s29, s29, s27
	s_mov_b64 s[24:25], 0
	v_mov_b32_e32 v0, v2
	s_branch .LBB26_6
.LBB26_5:                               ;   in Loop: Header=BB26_6 Depth=2
	v_add_u32_e32 v0, s29, v0
	v_cmp_le_u32_e32 vcc, s9, v0
	s_or_b64 s[24:25], vcc, s[24:25]
	s_andn2_b64 exec, exec, s[24:25]
	s_cbranch_execz .LBB26_2
.LBB26_6:                               ;   Parent Loop BB26_3 Depth=1
                                        ; =>  This Loop Header: Depth=2
                                        ;       Child Loop BB26_8 Depth 3
	s_and_b64 vcc, exec, s[2:3]
	s_cbranch_vccnz .LBB26_5
; %bb.7:                                ;   in Loop: Header=BB26_6 Depth=2
	v_lshlrev_b64 v[3:4], 2, v[0:1]
	v_mov_b32_e32 v5, s28
	v_add_co_u32_e32 v3, vcc, s7, v3
	v_addc_co_u32_e32 v4, vcc, v5, v4, vcc
	v_mov_b32_e32 v5, s11
	s_mov_b32 s30, s10
.LBB26_8:                               ;   Parent Loop BB26_3 Depth=1
                                        ;     Parent Loop BB26_6 Depth=2
                                        ; =>    This Inner Loop Header: Depth=3
	v_mov_b32_e32 v7, s15
	v_add_co_u32_e32 v6, vcc, s14, v3
	v_addc_co_u32_e32 v7, vcc, v7, v4, vcc
	global_load_dword v8, v[6:7], off
	v_mov_b32_e32 v7, s13
	v_add_co_u32_e32 v6, vcc, s12, v3
	s_add_i32 s30, s30, -1
	v_mov_b32_e32 v9, s21
	v_add_co_u32_e64 v3, s[4:5], s20, v3
	v_addc_co_u32_e32 v7, vcc, v7, v4, vcc
	v_addc_co_u32_e64 v4, vcc, v4, v9, s[4:5]
	s_cmp_eq_u32 s30, 0
	s_waitcnt vmcnt(0)
	v_mul_lo_u32 v5, v8, v5
	global_store_dword v[6:7], v5, off
	s_cbranch_scc0 .LBB26_8
	s_branch .LBB26_5
.LBB26_9:
	s_endpgm
	.section	.rodata,"a",@progbits
	.p2align	6, 0x0
	.amdhsa_kernel _ZN2at6native28tensor_kernel_scan_outer_dimIimSt10multipliesIiEEEvPT_PKS4_jjjS4_T1_
		.amdhsa_group_segment_fixed_size 0
		.amdhsa_private_segment_fixed_size 0
		.amdhsa_kernarg_size 296
		.amdhsa_user_sgpr_count 6
		.amdhsa_user_sgpr_private_segment_buffer 1
		.amdhsa_user_sgpr_dispatch_ptr 0
		.amdhsa_user_sgpr_queue_ptr 0
		.amdhsa_user_sgpr_kernarg_segment_ptr 1
		.amdhsa_user_sgpr_dispatch_id 0
		.amdhsa_user_sgpr_flat_scratch_init 0
		.amdhsa_user_sgpr_private_segment_size 0
		.amdhsa_uses_dynamic_stack 0
		.amdhsa_system_sgpr_private_segment_wavefront_offset 0
		.amdhsa_system_sgpr_workgroup_id_x 1
		.amdhsa_system_sgpr_workgroup_id_y 1
		.amdhsa_system_sgpr_workgroup_id_z 0
		.amdhsa_system_sgpr_workgroup_info 0
		.amdhsa_system_vgpr_workitem_id 0
		.amdhsa_next_free_vgpr 10
		.amdhsa_next_free_sgpr 31
		.amdhsa_reserve_vcc 1
		.amdhsa_reserve_flat_scratch 0
		.amdhsa_float_round_mode_32 0
		.amdhsa_float_round_mode_16_64 0
		.amdhsa_float_denorm_mode_32 3
		.amdhsa_float_denorm_mode_16_64 3
		.amdhsa_dx10_clamp 1
		.amdhsa_ieee_mode 1
		.amdhsa_fp16_overflow 0
		.amdhsa_exception_fp_ieee_invalid_op 0
		.amdhsa_exception_fp_denorm_src 0
		.amdhsa_exception_fp_ieee_div_zero 0
		.amdhsa_exception_fp_ieee_overflow 0
		.amdhsa_exception_fp_ieee_underflow 0
		.amdhsa_exception_fp_ieee_inexact 0
		.amdhsa_exception_int_div_zero 0
	.end_amdhsa_kernel
	.section	.text._ZN2at6native28tensor_kernel_scan_outer_dimIimSt10multipliesIiEEEvPT_PKS4_jjjS4_T1_,"axG",@progbits,_ZN2at6native28tensor_kernel_scan_outer_dimIimSt10multipliesIiEEEvPT_PKS4_jjjS4_T1_,comdat
.Lfunc_end26:
	.size	_ZN2at6native28tensor_kernel_scan_outer_dimIimSt10multipliesIiEEEvPT_PKS4_jjjS4_T1_, .Lfunc_end26-_ZN2at6native28tensor_kernel_scan_outer_dimIimSt10multipliesIiEEEvPT_PKS4_jjjS4_T1_
                                        ; -- End function
	.set _ZN2at6native28tensor_kernel_scan_outer_dimIimSt10multipliesIiEEEvPT_PKS4_jjjS4_T1_.num_vgpr, 10
	.set _ZN2at6native28tensor_kernel_scan_outer_dimIimSt10multipliesIiEEEvPT_PKS4_jjjS4_T1_.num_agpr, 0
	.set _ZN2at6native28tensor_kernel_scan_outer_dimIimSt10multipliesIiEEEvPT_PKS4_jjjS4_T1_.numbered_sgpr, 31
	.set _ZN2at6native28tensor_kernel_scan_outer_dimIimSt10multipliesIiEEEvPT_PKS4_jjjS4_T1_.num_named_barrier, 0
	.set _ZN2at6native28tensor_kernel_scan_outer_dimIimSt10multipliesIiEEEvPT_PKS4_jjjS4_T1_.private_seg_size, 0
	.set _ZN2at6native28tensor_kernel_scan_outer_dimIimSt10multipliesIiEEEvPT_PKS4_jjjS4_T1_.uses_vcc, 1
	.set _ZN2at6native28tensor_kernel_scan_outer_dimIimSt10multipliesIiEEEvPT_PKS4_jjjS4_T1_.uses_flat_scratch, 0
	.set _ZN2at6native28tensor_kernel_scan_outer_dimIimSt10multipliesIiEEEvPT_PKS4_jjjS4_T1_.has_dyn_sized_stack, 0
	.set _ZN2at6native28tensor_kernel_scan_outer_dimIimSt10multipliesIiEEEvPT_PKS4_jjjS4_T1_.has_recursion, 0
	.set _ZN2at6native28tensor_kernel_scan_outer_dimIimSt10multipliesIiEEEvPT_PKS4_jjjS4_T1_.has_indirect_call, 0
	.section	.AMDGPU.csdata,"",@progbits
; Kernel info:
; codeLenInByte = 352
; TotalNumSgprs: 35
; NumVgprs: 10
; ScratchSize: 0
; MemoryBound: 0
; FloatMode: 240
; IeeeMode: 1
; LDSByteSize: 0 bytes/workgroup (compile time only)
; SGPRBlocks: 4
; VGPRBlocks: 2
; NumSGPRsForWavesPerEU: 35
; NumVGPRsForWavesPerEU: 10
; Occupancy: 10
; WaveLimiterHint : 0
; COMPUTE_PGM_RSRC2:SCRATCH_EN: 0
; COMPUTE_PGM_RSRC2:USER_SGPR: 6
; COMPUTE_PGM_RSRC2:TRAP_HANDLER: 0
; COMPUTE_PGM_RSRC2:TGID_X_EN: 1
; COMPUTE_PGM_RSRC2:TGID_Y_EN: 1
; COMPUTE_PGM_RSRC2:TGID_Z_EN: 0
; COMPUTE_PGM_RSRC2:TIDIG_COMP_CNT: 0
	.section	.text._ZN7rocprim17ROCPRIM_304000_NS6detail31init_lookback_scan_state_kernelINS1_19lookback_scan_stateIlLb1ELb1EEEEEvT_jjPNS5_10value_typeE,"axG",@progbits,_ZN7rocprim17ROCPRIM_304000_NS6detail31init_lookback_scan_state_kernelINS1_19lookback_scan_stateIlLb1ELb1EEEEEvT_jjPNS5_10value_typeE,comdat
	.protected	_ZN7rocprim17ROCPRIM_304000_NS6detail31init_lookback_scan_state_kernelINS1_19lookback_scan_stateIlLb1ELb1EEEEEvT_jjPNS5_10value_typeE ; -- Begin function _ZN7rocprim17ROCPRIM_304000_NS6detail31init_lookback_scan_state_kernelINS1_19lookback_scan_stateIlLb1ELb1EEEEEvT_jjPNS5_10value_typeE
	.globl	_ZN7rocprim17ROCPRIM_304000_NS6detail31init_lookback_scan_state_kernelINS1_19lookback_scan_stateIlLb1ELb1EEEEEvT_jjPNS5_10value_typeE
	.p2align	8
	.type	_ZN7rocprim17ROCPRIM_304000_NS6detail31init_lookback_scan_state_kernelINS1_19lookback_scan_stateIlLb1ELb1EEEEEvT_jjPNS5_10value_typeE,@function
_ZN7rocprim17ROCPRIM_304000_NS6detail31init_lookback_scan_state_kernelINS1_19lookback_scan_stateIlLb1ELb1EEEEEvT_jjPNS5_10value_typeE: ; @_ZN7rocprim17ROCPRIM_304000_NS6detail31init_lookback_scan_state_kernelINS1_19lookback_scan_stateIlLb1ELb1EEEEEvT_jjPNS5_10value_typeE
; %bb.0:
	s_load_dword s7, s[4:5], 0x24
	s_load_dwordx2 s[8:9], s[4:5], 0x10
	s_load_dwordx4 s[0:3], s[4:5], 0x0
	s_waitcnt lgkmcnt(0)
	s_and_b32 s4, s7, 0xffff
	s_mul_i32 s6, s6, s4
	s_cmp_eq_u64 s[8:9], 0
	v_add_u32_e32 v0, s6, v0
	s_cbranch_scc1 .LBB27_10
; %bb.1:
	s_cmp_lt_u32 s3, s2
	s_cselect_b32 s4, s3, 0
	s_mov_b32 s7, 0
	v_cmp_eq_u32_e32 vcc, s4, v0
	s_and_saveexec_b64 s[4:5], vcc
	s_cbranch_execz .LBB27_9
; %bb.2:
	s_add_i32 s6, s3, 64
	s_lshl_b64 s[6:7], s[6:7], 4
	s_add_u32 s12, s0, s6
	s_addc_u32 s13, s1, s7
	v_mov_b32_e32 v1, s12
	v_mov_b32_e32 v2, s13
	;;#ASMSTART
	global_load_dwordx4 v[1:4], v[1:2] off glc	
s_waitcnt vmcnt(0)
	;;#ASMEND
	v_and_b32_e32 v4, 0xff, v3
	v_mov_b32_e32 v5, 0
	v_cmp_eq_u64_e32 vcc, 0, v[4:5]
	s_mov_b64 s[10:11], 0
	s_and_saveexec_b64 s[6:7], vcc
	s_cbranch_execz .LBB27_8
; %bb.3:
	v_mov_b32_e32 v6, s12
	s_mov_b32 s3, 1
	v_mov_b32_e32 v7, s13
.LBB27_4:                               ; =>This Loop Header: Depth=1
                                        ;     Child Loop BB27_5 Depth 2
	s_mov_b32 s12, s3
.LBB27_5:                               ;   Parent Loop BB27_4 Depth=1
                                        ; =>  This Inner Loop Header: Depth=2
	s_add_i32 s12, s12, -1
	s_cmp_eq_u32 s12, 0
	s_sleep 1
	s_cbranch_scc0 .LBB27_5
; %bb.6:                                ;   in Loop: Header=BB27_4 Depth=1
	s_cmp_lt_u32 s3, 32
	;;#ASMSTART
	global_load_dwordx4 v[1:4], v[6:7] off glc	
s_waitcnt vmcnt(0)
	;;#ASMEND
	s_cselect_b64 s[12:13], -1, 0
	v_and_b32_e32 v4, 0xff, v3
	s_cmp_lg_u64 s[12:13], 0
	v_cmp_ne_u64_e32 vcc, 0, v[4:5]
	s_addc_u32 s3, s3, 0
	s_or_b64 s[10:11], vcc, s[10:11]
	s_andn2_b64 exec, exec, s[10:11]
	s_cbranch_execnz .LBB27_4
; %bb.7:
	s_or_b64 exec, exec, s[10:11]
.LBB27_8:
	s_or_b64 exec, exec, s[6:7]
	v_mov_b32_e32 v3, 0
	global_store_dwordx2 v3, v[1:2], s[8:9]
.LBB27_9:
	s_or_b64 exec, exec, s[4:5]
.LBB27_10:
	v_cmp_gt_u32_e32 vcc, s2, v0
	s_and_saveexec_b64 s[2:3], vcc
	s_cbranch_execnz .LBB27_13
; %bb.11:
	s_or_b64 exec, exec, s[2:3]
	v_cmp_gt_u32_e32 vcc, 64, v0
	s_and_saveexec_b64 s[2:3], vcc
	s_cbranch_execnz .LBB27_14
.LBB27_12:
	s_endpgm
.LBB27_13:
	v_add_u32_e32 v1, 64, v0
	v_mov_b32_e32 v2, 0
	v_lshlrev_b64 v[3:4], 4, v[1:2]
	v_mov_b32_e32 v1, s1
	v_add_co_u32_e32 v5, vcc, s0, v3
	v_addc_co_u32_e32 v6, vcc, v1, v4, vcc
	v_mov_b32_e32 v1, v2
	v_mov_b32_e32 v3, v2
	;; [unrolled: 1-line block ×3, first 2 shown]
	global_store_dwordx4 v[5:6], v[1:4], off
	s_or_b64 exec, exec, s[2:3]
	v_cmp_gt_u32_e32 vcc, 64, v0
	s_and_saveexec_b64 s[2:3], vcc
	s_cbranch_execz .LBB27_12
.LBB27_14:
	v_mov_b32_e32 v1, 0
	v_lshlrev_b64 v[2:3], 4, v[0:1]
	v_mov_b32_e32 v0, s1
	v_add_co_u32_e32 v4, vcc, s0, v2
	v_addc_co_u32_e32 v5, vcc, v0, v3, vcc
	v_mov_b32_e32 v2, 0xff
	v_mov_b32_e32 v0, v1
	v_mov_b32_e32 v3, v1
	global_store_dwordx4 v[4:5], v[0:3], off
	s_endpgm
	.section	.rodata,"a",@progbits
	.p2align	6, 0x0
	.amdhsa_kernel _ZN7rocprim17ROCPRIM_304000_NS6detail31init_lookback_scan_state_kernelINS1_19lookback_scan_stateIlLb1ELb1EEEEEvT_jjPNS5_10value_typeE
		.amdhsa_group_segment_fixed_size 0
		.amdhsa_private_segment_fixed_size 0
		.amdhsa_kernarg_size 280
		.amdhsa_user_sgpr_count 6
		.amdhsa_user_sgpr_private_segment_buffer 1
		.amdhsa_user_sgpr_dispatch_ptr 0
		.amdhsa_user_sgpr_queue_ptr 0
		.amdhsa_user_sgpr_kernarg_segment_ptr 1
		.amdhsa_user_sgpr_dispatch_id 0
		.amdhsa_user_sgpr_flat_scratch_init 0
		.amdhsa_user_sgpr_private_segment_size 0
		.amdhsa_uses_dynamic_stack 0
		.amdhsa_system_sgpr_private_segment_wavefront_offset 0
		.amdhsa_system_sgpr_workgroup_id_x 1
		.amdhsa_system_sgpr_workgroup_id_y 0
		.amdhsa_system_sgpr_workgroup_id_z 0
		.amdhsa_system_sgpr_workgroup_info 0
		.amdhsa_system_vgpr_workitem_id 0
		.amdhsa_next_free_vgpr 8
		.amdhsa_next_free_sgpr 14
		.amdhsa_reserve_vcc 1
		.amdhsa_reserve_flat_scratch 0
		.amdhsa_float_round_mode_32 0
		.amdhsa_float_round_mode_16_64 0
		.amdhsa_float_denorm_mode_32 3
		.amdhsa_float_denorm_mode_16_64 3
		.amdhsa_dx10_clamp 1
		.amdhsa_ieee_mode 1
		.amdhsa_fp16_overflow 0
		.amdhsa_exception_fp_ieee_invalid_op 0
		.amdhsa_exception_fp_denorm_src 0
		.amdhsa_exception_fp_ieee_div_zero 0
		.amdhsa_exception_fp_ieee_overflow 0
		.amdhsa_exception_fp_ieee_underflow 0
		.amdhsa_exception_fp_ieee_inexact 0
		.amdhsa_exception_int_div_zero 0
	.end_amdhsa_kernel
	.section	.text._ZN7rocprim17ROCPRIM_304000_NS6detail31init_lookback_scan_state_kernelINS1_19lookback_scan_stateIlLb1ELb1EEEEEvT_jjPNS5_10value_typeE,"axG",@progbits,_ZN7rocprim17ROCPRIM_304000_NS6detail31init_lookback_scan_state_kernelINS1_19lookback_scan_stateIlLb1ELb1EEEEEvT_jjPNS5_10value_typeE,comdat
.Lfunc_end27:
	.size	_ZN7rocprim17ROCPRIM_304000_NS6detail31init_lookback_scan_state_kernelINS1_19lookback_scan_stateIlLb1ELb1EEEEEvT_jjPNS5_10value_typeE, .Lfunc_end27-_ZN7rocprim17ROCPRIM_304000_NS6detail31init_lookback_scan_state_kernelINS1_19lookback_scan_stateIlLb1ELb1EEEEEvT_jjPNS5_10value_typeE
                                        ; -- End function
	.set _ZN7rocprim17ROCPRIM_304000_NS6detail31init_lookback_scan_state_kernelINS1_19lookback_scan_stateIlLb1ELb1EEEEEvT_jjPNS5_10value_typeE.num_vgpr, 8
	.set _ZN7rocprim17ROCPRIM_304000_NS6detail31init_lookback_scan_state_kernelINS1_19lookback_scan_stateIlLb1ELb1EEEEEvT_jjPNS5_10value_typeE.num_agpr, 0
	.set _ZN7rocprim17ROCPRIM_304000_NS6detail31init_lookback_scan_state_kernelINS1_19lookback_scan_stateIlLb1ELb1EEEEEvT_jjPNS5_10value_typeE.numbered_sgpr, 14
	.set _ZN7rocprim17ROCPRIM_304000_NS6detail31init_lookback_scan_state_kernelINS1_19lookback_scan_stateIlLb1ELb1EEEEEvT_jjPNS5_10value_typeE.num_named_barrier, 0
	.set _ZN7rocprim17ROCPRIM_304000_NS6detail31init_lookback_scan_state_kernelINS1_19lookback_scan_stateIlLb1ELb1EEEEEvT_jjPNS5_10value_typeE.private_seg_size, 0
	.set _ZN7rocprim17ROCPRIM_304000_NS6detail31init_lookback_scan_state_kernelINS1_19lookback_scan_stateIlLb1ELb1EEEEEvT_jjPNS5_10value_typeE.uses_vcc, 1
	.set _ZN7rocprim17ROCPRIM_304000_NS6detail31init_lookback_scan_state_kernelINS1_19lookback_scan_stateIlLb1ELb1EEEEEvT_jjPNS5_10value_typeE.uses_flat_scratch, 0
	.set _ZN7rocprim17ROCPRIM_304000_NS6detail31init_lookback_scan_state_kernelINS1_19lookback_scan_stateIlLb1ELb1EEEEEvT_jjPNS5_10value_typeE.has_dyn_sized_stack, 0
	.set _ZN7rocprim17ROCPRIM_304000_NS6detail31init_lookback_scan_state_kernelINS1_19lookback_scan_stateIlLb1ELb1EEEEEvT_jjPNS5_10value_typeE.has_recursion, 0
	.set _ZN7rocprim17ROCPRIM_304000_NS6detail31init_lookback_scan_state_kernelINS1_19lookback_scan_stateIlLb1ELb1EEEEEvT_jjPNS5_10value_typeE.has_indirect_call, 0
	.section	.AMDGPU.csdata,"",@progbits
; Kernel info:
; codeLenInByte = 404
; TotalNumSgprs: 18
; NumVgprs: 8
; ScratchSize: 0
; MemoryBound: 0
; FloatMode: 240
; IeeeMode: 1
; LDSByteSize: 0 bytes/workgroup (compile time only)
; SGPRBlocks: 2
; VGPRBlocks: 1
; NumSGPRsForWavesPerEU: 18
; NumVGPRsForWavesPerEU: 8
; Occupancy: 10
; WaveLimiterHint : 0
; COMPUTE_PGM_RSRC2:SCRATCH_EN: 0
; COMPUTE_PGM_RSRC2:USER_SGPR: 6
; COMPUTE_PGM_RSRC2:TRAP_HANDLER: 0
; COMPUTE_PGM_RSRC2:TGID_X_EN: 1
; COMPUTE_PGM_RSRC2:TGID_Y_EN: 0
; COMPUTE_PGM_RSRC2:TGID_Z_EN: 0
; COMPUTE_PGM_RSRC2:TIDIG_COMP_CNT: 0
	.section	.text._ZN7rocprim17ROCPRIM_304000_NS6detail31init_lookback_scan_state_kernelINS1_19lookback_scan_stateIlLb0ELb1EEEEEvT_jjPNS5_10value_typeE,"axG",@progbits,_ZN7rocprim17ROCPRIM_304000_NS6detail31init_lookback_scan_state_kernelINS1_19lookback_scan_stateIlLb0ELb1EEEEEvT_jjPNS5_10value_typeE,comdat
	.protected	_ZN7rocprim17ROCPRIM_304000_NS6detail31init_lookback_scan_state_kernelINS1_19lookback_scan_stateIlLb0ELb1EEEEEvT_jjPNS5_10value_typeE ; -- Begin function _ZN7rocprim17ROCPRIM_304000_NS6detail31init_lookback_scan_state_kernelINS1_19lookback_scan_stateIlLb0ELb1EEEEEvT_jjPNS5_10value_typeE
	.globl	_ZN7rocprim17ROCPRIM_304000_NS6detail31init_lookback_scan_state_kernelINS1_19lookback_scan_stateIlLb0ELb1EEEEEvT_jjPNS5_10value_typeE
	.p2align	8
	.type	_ZN7rocprim17ROCPRIM_304000_NS6detail31init_lookback_scan_state_kernelINS1_19lookback_scan_stateIlLb0ELb1EEEEEvT_jjPNS5_10value_typeE,@function
_ZN7rocprim17ROCPRIM_304000_NS6detail31init_lookback_scan_state_kernelINS1_19lookback_scan_stateIlLb0ELb1EEEEEvT_jjPNS5_10value_typeE: ; @_ZN7rocprim17ROCPRIM_304000_NS6detail31init_lookback_scan_state_kernelINS1_19lookback_scan_stateIlLb0ELb1EEEEEvT_jjPNS5_10value_typeE
; %bb.0:
	s_load_dword s7, s[4:5], 0x24
	s_load_dwordx2 s[8:9], s[4:5], 0x10
	s_load_dwordx4 s[0:3], s[4:5], 0x0
	s_waitcnt lgkmcnt(0)
	s_and_b32 s4, s7, 0xffff
	s_mul_i32 s6, s6, s4
	s_cmp_eq_u64 s[8:9], 0
	v_add_u32_e32 v0, s6, v0
	s_cbranch_scc1 .LBB28_8
; %bb.1:
	s_cmp_lt_u32 s3, s2
	s_cselect_b32 s4, s3, 0
	s_mov_b32 s7, 0
	v_cmp_eq_u32_e32 vcc, s4, v0
	s_and_saveexec_b64 s[4:5], vcc
	s_cbranch_execz .LBB28_7
; %bb.2:
	s_add_i32 s6, s3, 64
	s_lshl_b64 s[6:7], s[6:7], 4
	s_add_u32 s12, s0, s6
	s_addc_u32 s13, s1, s7
	v_mov_b32_e32 v1, s12
	v_mov_b32_e32 v2, s13
	;;#ASMSTART
	global_load_dwordx4 v[1:4], v[1:2] off glc	
s_waitcnt vmcnt(0)
	;;#ASMEND
	v_and_b32_e32 v4, 0xff, v3
	v_mov_b32_e32 v5, 0
	v_cmp_eq_u64_e32 vcc, 0, v[4:5]
	s_mov_b64 s[10:11], 0
	s_and_saveexec_b64 s[6:7], vcc
	s_cbranch_execz .LBB28_6
; %bb.3:
	v_mov_b32_e32 v6, s12
	v_mov_b32_e32 v7, s13
.LBB28_4:                               ; =>This Inner Loop Header: Depth=1
	;;#ASMSTART
	global_load_dwordx4 v[1:4], v[6:7] off glc	
s_waitcnt vmcnt(0)
	;;#ASMEND
	v_and_b32_e32 v4, 0xff, v3
	v_cmp_ne_u64_e32 vcc, 0, v[4:5]
	s_or_b64 s[10:11], vcc, s[10:11]
	s_andn2_b64 exec, exec, s[10:11]
	s_cbranch_execnz .LBB28_4
; %bb.5:
	s_or_b64 exec, exec, s[10:11]
.LBB28_6:
	s_or_b64 exec, exec, s[6:7]
	v_mov_b32_e32 v3, 0
	global_store_dwordx2 v3, v[1:2], s[8:9]
.LBB28_7:
	s_or_b64 exec, exec, s[4:5]
.LBB28_8:
	v_cmp_gt_u32_e32 vcc, s2, v0
	s_and_saveexec_b64 s[2:3], vcc
	s_cbranch_execnz .LBB28_11
; %bb.9:
	s_or_b64 exec, exec, s[2:3]
	v_cmp_gt_u32_e32 vcc, 64, v0
	s_and_saveexec_b64 s[2:3], vcc
	s_cbranch_execnz .LBB28_12
.LBB28_10:
	s_endpgm
.LBB28_11:
	v_add_u32_e32 v1, 64, v0
	v_mov_b32_e32 v2, 0
	v_lshlrev_b64 v[3:4], 4, v[1:2]
	v_mov_b32_e32 v1, s1
	v_add_co_u32_e32 v5, vcc, s0, v3
	v_addc_co_u32_e32 v6, vcc, v1, v4, vcc
	v_mov_b32_e32 v1, v2
	v_mov_b32_e32 v3, v2
	;; [unrolled: 1-line block ×3, first 2 shown]
	global_store_dwordx4 v[5:6], v[1:4], off
	s_or_b64 exec, exec, s[2:3]
	v_cmp_gt_u32_e32 vcc, 64, v0
	s_and_saveexec_b64 s[2:3], vcc
	s_cbranch_execz .LBB28_10
.LBB28_12:
	v_mov_b32_e32 v1, 0
	v_lshlrev_b64 v[2:3], 4, v[0:1]
	v_mov_b32_e32 v0, s1
	v_add_co_u32_e32 v4, vcc, s0, v2
	v_addc_co_u32_e32 v5, vcc, v0, v3, vcc
	v_mov_b32_e32 v2, 0xff
	v_mov_b32_e32 v0, v1
	;; [unrolled: 1-line block ×3, first 2 shown]
	global_store_dwordx4 v[4:5], v[0:3], off
	s_endpgm
	.section	.rodata,"a",@progbits
	.p2align	6, 0x0
	.amdhsa_kernel _ZN7rocprim17ROCPRIM_304000_NS6detail31init_lookback_scan_state_kernelINS1_19lookback_scan_stateIlLb0ELb1EEEEEvT_jjPNS5_10value_typeE
		.amdhsa_group_segment_fixed_size 0
		.amdhsa_private_segment_fixed_size 0
		.amdhsa_kernarg_size 280
		.amdhsa_user_sgpr_count 6
		.amdhsa_user_sgpr_private_segment_buffer 1
		.amdhsa_user_sgpr_dispatch_ptr 0
		.amdhsa_user_sgpr_queue_ptr 0
		.amdhsa_user_sgpr_kernarg_segment_ptr 1
		.amdhsa_user_sgpr_dispatch_id 0
		.amdhsa_user_sgpr_flat_scratch_init 0
		.amdhsa_user_sgpr_private_segment_size 0
		.amdhsa_uses_dynamic_stack 0
		.amdhsa_system_sgpr_private_segment_wavefront_offset 0
		.amdhsa_system_sgpr_workgroup_id_x 1
		.amdhsa_system_sgpr_workgroup_id_y 0
		.amdhsa_system_sgpr_workgroup_id_z 0
		.amdhsa_system_sgpr_workgroup_info 0
		.amdhsa_system_vgpr_workitem_id 0
		.amdhsa_next_free_vgpr 8
		.amdhsa_next_free_sgpr 14
		.amdhsa_reserve_vcc 1
		.amdhsa_reserve_flat_scratch 0
		.amdhsa_float_round_mode_32 0
		.amdhsa_float_round_mode_16_64 0
		.amdhsa_float_denorm_mode_32 3
		.amdhsa_float_denorm_mode_16_64 3
		.amdhsa_dx10_clamp 1
		.amdhsa_ieee_mode 1
		.amdhsa_fp16_overflow 0
		.amdhsa_exception_fp_ieee_invalid_op 0
		.amdhsa_exception_fp_denorm_src 0
		.amdhsa_exception_fp_ieee_div_zero 0
		.amdhsa_exception_fp_ieee_overflow 0
		.amdhsa_exception_fp_ieee_underflow 0
		.amdhsa_exception_fp_ieee_inexact 0
		.amdhsa_exception_int_div_zero 0
	.end_amdhsa_kernel
	.section	.text._ZN7rocprim17ROCPRIM_304000_NS6detail31init_lookback_scan_state_kernelINS1_19lookback_scan_stateIlLb0ELb1EEEEEvT_jjPNS5_10value_typeE,"axG",@progbits,_ZN7rocprim17ROCPRIM_304000_NS6detail31init_lookback_scan_state_kernelINS1_19lookback_scan_stateIlLb0ELb1EEEEEvT_jjPNS5_10value_typeE,comdat
.Lfunc_end28:
	.size	_ZN7rocprim17ROCPRIM_304000_NS6detail31init_lookback_scan_state_kernelINS1_19lookback_scan_stateIlLb0ELb1EEEEEvT_jjPNS5_10value_typeE, .Lfunc_end28-_ZN7rocprim17ROCPRIM_304000_NS6detail31init_lookback_scan_state_kernelINS1_19lookback_scan_stateIlLb0ELb1EEEEEvT_jjPNS5_10value_typeE
                                        ; -- End function
	.set _ZN7rocprim17ROCPRIM_304000_NS6detail31init_lookback_scan_state_kernelINS1_19lookback_scan_stateIlLb0ELb1EEEEEvT_jjPNS5_10value_typeE.num_vgpr, 8
	.set _ZN7rocprim17ROCPRIM_304000_NS6detail31init_lookback_scan_state_kernelINS1_19lookback_scan_stateIlLb0ELb1EEEEEvT_jjPNS5_10value_typeE.num_agpr, 0
	.set _ZN7rocprim17ROCPRIM_304000_NS6detail31init_lookback_scan_state_kernelINS1_19lookback_scan_stateIlLb0ELb1EEEEEvT_jjPNS5_10value_typeE.numbered_sgpr, 14
	.set _ZN7rocprim17ROCPRIM_304000_NS6detail31init_lookback_scan_state_kernelINS1_19lookback_scan_stateIlLb0ELb1EEEEEvT_jjPNS5_10value_typeE.num_named_barrier, 0
	.set _ZN7rocprim17ROCPRIM_304000_NS6detail31init_lookback_scan_state_kernelINS1_19lookback_scan_stateIlLb0ELb1EEEEEvT_jjPNS5_10value_typeE.private_seg_size, 0
	.set _ZN7rocprim17ROCPRIM_304000_NS6detail31init_lookback_scan_state_kernelINS1_19lookback_scan_stateIlLb0ELb1EEEEEvT_jjPNS5_10value_typeE.uses_vcc, 1
	.set _ZN7rocprim17ROCPRIM_304000_NS6detail31init_lookback_scan_state_kernelINS1_19lookback_scan_stateIlLb0ELb1EEEEEvT_jjPNS5_10value_typeE.uses_flat_scratch, 0
	.set _ZN7rocprim17ROCPRIM_304000_NS6detail31init_lookback_scan_state_kernelINS1_19lookback_scan_stateIlLb0ELb1EEEEEvT_jjPNS5_10value_typeE.has_dyn_sized_stack, 0
	.set _ZN7rocprim17ROCPRIM_304000_NS6detail31init_lookback_scan_state_kernelINS1_19lookback_scan_stateIlLb0ELb1EEEEEvT_jjPNS5_10value_typeE.has_recursion, 0
	.set _ZN7rocprim17ROCPRIM_304000_NS6detail31init_lookback_scan_state_kernelINS1_19lookback_scan_stateIlLb0ELb1EEEEEvT_jjPNS5_10value_typeE.has_indirect_call, 0
	.section	.AMDGPU.csdata,"",@progbits
; Kernel info:
; codeLenInByte = 364
; TotalNumSgprs: 18
; NumVgprs: 8
; ScratchSize: 0
; MemoryBound: 0
; FloatMode: 240
; IeeeMode: 1
; LDSByteSize: 0 bytes/workgroup (compile time only)
; SGPRBlocks: 2
; VGPRBlocks: 1
; NumSGPRsForWavesPerEU: 18
; NumVGPRsForWavesPerEU: 8
; Occupancy: 10
; WaveLimiterHint : 0
; COMPUTE_PGM_RSRC2:SCRATCH_EN: 0
; COMPUTE_PGM_RSRC2:USER_SGPR: 6
; COMPUTE_PGM_RSRC2:TRAP_HANDLER: 0
; COMPUTE_PGM_RSRC2:TGID_X_EN: 1
; COMPUTE_PGM_RSRC2:TGID_Y_EN: 0
; COMPUTE_PGM_RSRC2:TGID_Z_EN: 0
; COMPUTE_PGM_RSRC2:TIDIG_COMP_CNT: 0
	.section	.text._ZN7rocprim17ROCPRIM_304000_NS6detail20lookback_scan_kernelILNS1_25lookback_scan_determinismE0ELb0ENS1_19wrapped_scan_configINS0_14default_configElEEPKlPlSt10multipliesIlEllNS1_19lookback_scan_stateIlLb1ELb1EEEEEvT2_T3_mT5_T4_T7_jPT6_SK_bb,"axG",@progbits,_ZN7rocprim17ROCPRIM_304000_NS6detail20lookback_scan_kernelILNS1_25lookback_scan_determinismE0ELb0ENS1_19wrapped_scan_configINS0_14default_configElEEPKlPlSt10multipliesIlEllNS1_19lookback_scan_stateIlLb1ELb1EEEEEvT2_T3_mT5_T4_T7_jPT6_SK_bb,comdat
	.protected	_ZN7rocprim17ROCPRIM_304000_NS6detail20lookback_scan_kernelILNS1_25lookback_scan_determinismE0ELb0ENS1_19wrapped_scan_configINS0_14default_configElEEPKlPlSt10multipliesIlEllNS1_19lookback_scan_stateIlLb1ELb1EEEEEvT2_T3_mT5_T4_T7_jPT6_SK_bb ; -- Begin function _ZN7rocprim17ROCPRIM_304000_NS6detail20lookback_scan_kernelILNS1_25lookback_scan_determinismE0ELb0ENS1_19wrapped_scan_configINS0_14default_configElEEPKlPlSt10multipliesIlEllNS1_19lookback_scan_stateIlLb1ELb1EEEEEvT2_T3_mT5_T4_T7_jPT6_SK_bb
	.globl	_ZN7rocprim17ROCPRIM_304000_NS6detail20lookback_scan_kernelILNS1_25lookback_scan_determinismE0ELb0ENS1_19wrapped_scan_configINS0_14default_configElEEPKlPlSt10multipliesIlEllNS1_19lookback_scan_stateIlLb1ELb1EEEEEvT2_T3_mT5_T4_T7_jPT6_SK_bb
	.p2align	8
	.type	_ZN7rocprim17ROCPRIM_304000_NS6detail20lookback_scan_kernelILNS1_25lookback_scan_determinismE0ELb0ENS1_19wrapped_scan_configINS0_14default_configElEEPKlPlSt10multipliesIlEllNS1_19lookback_scan_stateIlLb1ELb1EEEEEvT2_T3_mT5_T4_T7_jPT6_SK_bb,@function
_ZN7rocprim17ROCPRIM_304000_NS6detail20lookback_scan_kernelILNS1_25lookback_scan_determinismE0ELb0ENS1_19wrapped_scan_configINS0_14default_configElEEPKlPlSt10multipliesIlEllNS1_19lookback_scan_stateIlLb1ELb1EEEEEvT2_T3_mT5_T4_T7_jPT6_SK_bb: ; @_ZN7rocprim17ROCPRIM_304000_NS6detail20lookback_scan_kernelILNS1_25lookback_scan_determinismE0ELb0ENS1_19wrapped_scan_configINS0_14default_configElEEPKlPlSt10multipliesIlEllNS1_19lookback_scan_stateIlLb1ELb1EEEEEvT2_T3_mT5_T4_T7_jPT6_SK_bb
; %bb.0:
	s_endpgm
	.section	.rodata,"a",@progbits
	.p2align	6, 0x0
	.amdhsa_kernel _ZN7rocprim17ROCPRIM_304000_NS6detail20lookback_scan_kernelILNS1_25lookback_scan_determinismE0ELb0ENS1_19wrapped_scan_configINS0_14default_configElEEPKlPlSt10multipliesIlEllNS1_19lookback_scan_stateIlLb1ELb1EEEEEvT2_T3_mT5_T4_T7_jPT6_SK_bb
		.amdhsa_group_segment_fixed_size 0
		.amdhsa_private_segment_fixed_size 0
		.amdhsa_kernarg_size 76
		.amdhsa_user_sgpr_count 6
		.amdhsa_user_sgpr_private_segment_buffer 1
		.amdhsa_user_sgpr_dispatch_ptr 0
		.amdhsa_user_sgpr_queue_ptr 0
		.amdhsa_user_sgpr_kernarg_segment_ptr 1
		.amdhsa_user_sgpr_dispatch_id 0
		.amdhsa_user_sgpr_flat_scratch_init 0
		.amdhsa_user_sgpr_private_segment_size 0
		.amdhsa_uses_dynamic_stack 0
		.amdhsa_system_sgpr_private_segment_wavefront_offset 0
		.amdhsa_system_sgpr_workgroup_id_x 1
		.amdhsa_system_sgpr_workgroup_id_y 0
		.amdhsa_system_sgpr_workgroup_id_z 0
		.amdhsa_system_sgpr_workgroup_info 0
		.amdhsa_system_vgpr_workitem_id 0
		.amdhsa_next_free_vgpr 1
		.amdhsa_next_free_sgpr 0
		.amdhsa_reserve_vcc 0
		.amdhsa_reserve_flat_scratch 0
		.amdhsa_float_round_mode_32 0
		.amdhsa_float_round_mode_16_64 0
		.amdhsa_float_denorm_mode_32 3
		.amdhsa_float_denorm_mode_16_64 3
		.amdhsa_dx10_clamp 1
		.amdhsa_ieee_mode 1
		.amdhsa_fp16_overflow 0
		.amdhsa_exception_fp_ieee_invalid_op 0
		.amdhsa_exception_fp_denorm_src 0
		.amdhsa_exception_fp_ieee_div_zero 0
		.amdhsa_exception_fp_ieee_overflow 0
		.amdhsa_exception_fp_ieee_underflow 0
		.amdhsa_exception_fp_ieee_inexact 0
		.amdhsa_exception_int_div_zero 0
	.end_amdhsa_kernel
	.section	.text._ZN7rocprim17ROCPRIM_304000_NS6detail20lookback_scan_kernelILNS1_25lookback_scan_determinismE0ELb0ENS1_19wrapped_scan_configINS0_14default_configElEEPKlPlSt10multipliesIlEllNS1_19lookback_scan_stateIlLb1ELb1EEEEEvT2_T3_mT5_T4_T7_jPT6_SK_bb,"axG",@progbits,_ZN7rocprim17ROCPRIM_304000_NS6detail20lookback_scan_kernelILNS1_25lookback_scan_determinismE0ELb0ENS1_19wrapped_scan_configINS0_14default_configElEEPKlPlSt10multipliesIlEllNS1_19lookback_scan_stateIlLb1ELb1EEEEEvT2_T3_mT5_T4_T7_jPT6_SK_bb,comdat
.Lfunc_end29:
	.size	_ZN7rocprim17ROCPRIM_304000_NS6detail20lookback_scan_kernelILNS1_25lookback_scan_determinismE0ELb0ENS1_19wrapped_scan_configINS0_14default_configElEEPKlPlSt10multipliesIlEllNS1_19lookback_scan_stateIlLb1ELb1EEEEEvT2_T3_mT5_T4_T7_jPT6_SK_bb, .Lfunc_end29-_ZN7rocprim17ROCPRIM_304000_NS6detail20lookback_scan_kernelILNS1_25lookback_scan_determinismE0ELb0ENS1_19wrapped_scan_configINS0_14default_configElEEPKlPlSt10multipliesIlEllNS1_19lookback_scan_stateIlLb1ELb1EEEEEvT2_T3_mT5_T4_T7_jPT6_SK_bb
                                        ; -- End function
	.set _ZN7rocprim17ROCPRIM_304000_NS6detail20lookback_scan_kernelILNS1_25lookback_scan_determinismE0ELb0ENS1_19wrapped_scan_configINS0_14default_configElEEPKlPlSt10multipliesIlEllNS1_19lookback_scan_stateIlLb1ELb1EEEEEvT2_T3_mT5_T4_T7_jPT6_SK_bb.num_vgpr, 0
	.set _ZN7rocprim17ROCPRIM_304000_NS6detail20lookback_scan_kernelILNS1_25lookback_scan_determinismE0ELb0ENS1_19wrapped_scan_configINS0_14default_configElEEPKlPlSt10multipliesIlEllNS1_19lookback_scan_stateIlLb1ELb1EEEEEvT2_T3_mT5_T4_T7_jPT6_SK_bb.num_agpr, 0
	.set _ZN7rocprim17ROCPRIM_304000_NS6detail20lookback_scan_kernelILNS1_25lookback_scan_determinismE0ELb0ENS1_19wrapped_scan_configINS0_14default_configElEEPKlPlSt10multipliesIlEllNS1_19lookback_scan_stateIlLb1ELb1EEEEEvT2_T3_mT5_T4_T7_jPT6_SK_bb.numbered_sgpr, 0
	.set _ZN7rocprim17ROCPRIM_304000_NS6detail20lookback_scan_kernelILNS1_25lookback_scan_determinismE0ELb0ENS1_19wrapped_scan_configINS0_14default_configElEEPKlPlSt10multipliesIlEllNS1_19lookback_scan_stateIlLb1ELb1EEEEEvT2_T3_mT5_T4_T7_jPT6_SK_bb.num_named_barrier, 0
	.set _ZN7rocprim17ROCPRIM_304000_NS6detail20lookback_scan_kernelILNS1_25lookback_scan_determinismE0ELb0ENS1_19wrapped_scan_configINS0_14default_configElEEPKlPlSt10multipliesIlEllNS1_19lookback_scan_stateIlLb1ELb1EEEEEvT2_T3_mT5_T4_T7_jPT6_SK_bb.private_seg_size, 0
	.set _ZN7rocprim17ROCPRIM_304000_NS6detail20lookback_scan_kernelILNS1_25lookback_scan_determinismE0ELb0ENS1_19wrapped_scan_configINS0_14default_configElEEPKlPlSt10multipliesIlEllNS1_19lookback_scan_stateIlLb1ELb1EEEEEvT2_T3_mT5_T4_T7_jPT6_SK_bb.uses_vcc, 0
	.set _ZN7rocprim17ROCPRIM_304000_NS6detail20lookback_scan_kernelILNS1_25lookback_scan_determinismE0ELb0ENS1_19wrapped_scan_configINS0_14default_configElEEPKlPlSt10multipliesIlEllNS1_19lookback_scan_stateIlLb1ELb1EEEEEvT2_T3_mT5_T4_T7_jPT6_SK_bb.uses_flat_scratch, 0
	.set _ZN7rocprim17ROCPRIM_304000_NS6detail20lookback_scan_kernelILNS1_25lookback_scan_determinismE0ELb0ENS1_19wrapped_scan_configINS0_14default_configElEEPKlPlSt10multipliesIlEllNS1_19lookback_scan_stateIlLb1ELb1EEEEEvT2_T3_mT5_T4_T7_jPT6_SK_bb.has_dyn_sized_stack, 0
	.set _ZN7rocprim17ROCPRIM_304000_NS6detail20lookback_scan_kernelILNS1_25lookback_scan_determinismE0ELb0ENS1_19wrapped_scan_configINS0_14default_configElEEPKlPlSt10multipliesIlEllNS1_19lookback_scan_stateIlLb1ELb1EEEEEvT2_T3_mT5_T4_T7_jPT6_SK_bb.has_recursion, 0
	.set _ZN7rocprim17ROCPRIM_304000_NS6detail20lookback_scan_kernelILNS1_25lookback_scan_determinismE0ELb0ENS1_19wrapped_scan_configINS0_14default_configElEEPKlPlSt10multipliesIlEllNS1_19lookback_scan_stateIlLb1ELb1EEEEEvT2_T3_mT5_T4_T7_jPT6_SK_bb.has_indirect_call, 0
	.section	.AMDGPU.csdata,"",@progbits
; Kernel info:
; codeLenInByte = 4
; TotalNumSgprs: 4
; NumVgprs: 0
; ScratchSize: 0
; MemoryBound: 0
; FloatMode: 240
; IeeeMode: 1
; LDSByteSize: 0 bytes/workgroup (compile time only)
; SGPRBlocks: 0
; VGPRBlocks: 0
; NumSGPRsForWavesPerEU: 4
; NumVGPRsForWavesPerEU: 1
; Occupancy: 10
; WaveLimiterHint : 0
; COMPUTE_PGM_RSRC2:SCRATCH_EN: 0
; COMPUTE_PGM_RSRC2:USER_SGPR: 6
; COMPUTE_PGM_RSRC2:TRAP_HANDLER: 0
; COMPUTE_PGM_RSRC2:TGID_X_EN: 1
; COMPUTE_PGM_RSRC2:TGID_Y_EN: 0
; COMPUTE_PGM_RSRC2:TGID_Z_EN: 0
; COMPUTE_PGM_RSRC2:TIDIG_COMP_CNT: 0
	.section	.text._ZN7rocprim17ROCPRIM_304000_NS6detail20lookback_scan_kernelILNS1_25lookback_scan_determinismE0ELb0ENS1_19wrapped_scan_configINS0_14default_configElEEPKlPlSt10multipliesIlEllNS1_19lookback_scan_stateIlLb0ELb1EEEEEvT2_T3_mT5_T4_T7_jPT6_SK_bb,"axG",@progbits,_ZN7rocprim17ROCPRIM_304000_NS6detail20lookback_scan_kernelILNS1_25lookback_scan_determinismE0ELb0ENS1_19wrapped_scan_configINS0_14default_configElEEPKlPlSt10multipliesIlEllNS1_19lookback_scan_stateIlLb0ELb1EEEEEvT2_T3_mT5_T4_T7_jPT6_SK_bb,comdat
	.protected	_ZN7rocprim17ROCPRIM_304000_NS6detail20lookback_scan_kernelILNS1_25lookback_scan_determinismE0ELb0ENS1_19wrapped_scan_configINS0_14default_configElEEPKlPlSt10multipliesIlEllNS1_19lookback_scan_stateIlLb0ELb1EEEEEvT2_T3_mT5_T4_T7_jPT6_SK_bb ; -- Begin function _ZN7rocprim17ROCPRIM_304000_NS6detail20lookback_scan_kernelILNS1_25lookback_scan_determinismE0ELb0ENS1_19wrapped_scan_configINS0_14default_configElEEPKlPlSt10multipliesIlEllNS1_19lookback_scan_stateIlLb0ELb1EEEEEvT2_T3_mT5_T4_T7_jPT6_SK_bb
	.globl	_ZN7rocprim17ROCPRIM_304000_NS6detail20lookback_scan_kernelILNS1_25lookback_scan_determinismE0ELb0ENS1_19wrapped_scan_configINS0_14default_configElEEPKlPlSt10multipliesIlEllNS1_19lookback_scan_stateIlLb0ELb1EEEEEvT2_T3_mT5_T4_T7_jPT6_SK_bb
	.p2align	8
	.type	_ZN7rocprim17ROCPRIM_304000_NS6detail20lookback_scan_kernelILNS1_25lookback_scan_determinismE0ELb0ENS1_19wrapped_scan_configINS0_14default_configElEEPKlPlSt10multipliesIlEllNS1_19lookback_scan_stateIlLb0ELb1EEEEEvT2_T3_mT5_T4_T7_jPT6_SK_bb,@function
_ZN7rocprim17ROCPRIM_304000_NS6detail20lookback_scan_kernelILNS1_25lookback_scan_determinismE0ELb0ENS1_19wrapped_scan_configINS0_14default_configElEEPKlPlSt10multipliesIlEllNS1_19lookback_scan_stateIlLb0ELb1EEEEEvT2_T3_mT5_T4_T7_jPT6_SK_bb: ; @_ZN7rocprim17ROCPRIM_304000_NS6detail20lookback_scan_kernelILNS1_25lookback_scan_determinismE0ELb0ENS1_19wrapped_scan_configINS0_14default_configElEEPKlPlSt10multipliesIlEllNS1_19lookback_scan_stateIlLb0ELb1EEEEEvT2_T3_mT5_T4_T7_jPT6_SK_bb
; %bb.0:
	s_load_dword s3, s[4:5], 0x30
	s_load_dwordx4 s[8:11], s[4:5], 0x0
	s_load_dwordx2 s[0:1], s[4:5], 0x10
	s_mul_i32 s2, s6, 0x380
	v_lshlrev_b32_e32 v43, 3, v0
	s_waitcnt lgkmcnt(0)
	s_add_i32 s7, s3, -1
	s_mul_i32 s12, s7, 0x380
	s_sub_u32 s20, s0, s12
	s_subb_u32 s21, s1, 0
	s_mov_b32 s3, 0
	s_cmp_lg_u32 s6, s7
	s_cselect_b64 s[16:17], -1, 0
	s_lshl_b64 s[18:19], s[2:3], 3
	s_add_u32 s8, s8, s18
	s_addc_u32 s9, s9, s19
	s_mov_b64 s[0:1], -1
	s_and_b64 vcc, exec, s[16:17]
	s_cbranch_vccz .LBB30_2
; %bb.1:
	v_mov_b32_e32 v1, s9
	v_add_co_u32_e32 v17, vcc, s8, v43
	v_addc_co_u32_e32 v18, vcc, 0, v1, vcc
	v_add_co_u32_e32 v17, vcc, 0x1000, v17
	v_addc_co_u32_e32 v18, vcc, 0, v18, vcc
	global_load_dwordx2 v[1:2], v43, s[8:9]
	global_load_dwordx2 v[3:4], v43, s[8:9] offset:512
	global_load_dwordx2 v[5:6], v43, s[8:9] offset:1024
	;; [unrolled: 1-line block ×7, first 2 shown]
	global_load_dwordx2 v[19:20], v[17:18], off
	global_load_dwordx2 v[21:22], v[17:18], off offset:512
	global_load_dwordx2 v[23:24], v[17:18], off offset:1024
	;; [unrolled: 1-line block ×5, first 2 shown]
	s_mov_b64 s[0:1], 0
	s_waitcnt vmcnt(12)
	ds_write2st64_b64 v43, v[1:2], v[3:4] offset1:1
	s_waitcnt vmcnt(10)
	ds_write2st64_b64 v43, v[5:6], v[7:8] offset0:2 offset1:3
	s_waitcnt vmcnt(8)
	ds_write2st64_b64 v43, v[9:10], v[11:12] offset0:4 offset1:5
	s_waitcnt vmcnt(6)
	ds_write2st64_b64 v43, v[13:14], v[15:16] offset0:6 offset1:7
	s_waitcnt vmcnt(4)
	ds_write2st64_b64 v43, v[19:20], v[21:22] offset0:8 offset1:9
	s_waitcnt vmcnt(2)
	ds_write2st64_b64 v43, v[23:24], v[25:26] offset0:10 offset1:11
	s_waitcnt vmcnt(0)
	ds_write2st64_b64 v43, v[27:28], v[29:30] offset0:12 offset1:13
	s_waitcnt lgkmcnt(0)
	; wave barrier
.LBB30_2:
	s_andn2_b64 vcc, exec, s[0:1]
	v_cmp_gt_u32_e64 s[0:1], s20, v0
	s_cbranch_vccnz .LBB30_32
; %bb.3:
	s_load_dwordx2 s[2:3], s[8:9], 0x0
	v_mov_b32_e32 v1, s9
	v_add_co_u32_e32 v3, vcc, s8, v43
	v_addc_co_u32_e32 v4, vcc, 0, v1, vcc
	s_waitcnt lgkmcnt(0)
	v_mov_b32_e32 v1, s2
	v_mov_b32_e32 v2, s3
	s_and_saveexec_b64 s[8:9], s[0:1]
	s_cbranch_execz .LBB30_5
; %bb.4:
	global_load_dwordx2 v[1:2], v[3:4], off
.LBB30_5:
	s_or_b64 exec, exec, s[8:9]
	v_or_b32_e32 v5, 64, v0
	v_cmp_gt_u32_e32 vcc, s20, v5
	v_mov_b32_e32 v6, s3
	v_mov_b32_e32 v5, s2
	s_and_saveexec_b64 s[0:1], vcc
	s_cbranch_execz .LBB30_7
; %bb.6:
	global_load_dwordx2 v[5:6], v[3:4], off offset:512
.LBB30_7:
	s_or_b64 exec, exec, s[0:1]
	v_or_b32_e32 v7, 0x80, v0
	v_cmp_gt_u32_e32 vcc, s20, v7
	v_mov_b32_e32 v8, s3
	v_mov_b32_e32 v7, s2
	s_and_saveexec_b64 s[0:1], vcc
	s_cbranch_execz .LBB30_9
; %bb.8:
	global_load_dwordx2 v[7:8], v[3:4], off offset:1024
.LBB30_9:
	;; [unrolled: 10-line block ×7, first 2 shown]
	s_or_b64 exec, exec, s[0:1]
	v_or_b32_e32 v19, 0x200, v0
	v_cmp_gt_u32_e32 vcc, s20, v19
	v_mov_b32_e32 v20, s3
	v_mov_b32_e32 v19, s2
	s_and_saveexec_b64 s[0:1], vcc
	s_cbranch_execz .LBB30_21
; %bb.20:
	v_add_co_u32_e32 v19, vcc, 0x1000, v3
	v_addc_co_u32_e32 v20, vcc, 0, v4, vcc
	global_load_dwordx2 v[19:20], v[19:20], off
.LBB30_21:
	s_or_b64 exec, exec, s[0:1]
	v_or_b32_e32 v21, 0x240, v0
	v_cmp_gt_u32_e32 vcc, s20, v21
	v_mov_b32_e32 v22, s3
	v_mov_b32_e32 v21, s2
	s_and_saveexec_b64 s[0:1], vcc
	s_cbranch_execz .LBB30_23
; %bb.22:
	v_add_co_u32_e32 v21, vcc, 0x1000, v3
	v_addc_co_u32_e32 v22, vcc, 0, v4, vcc
	global_load_dwordx2 v[21:22], v[21:22], off offset:512
.LBB30_23:
	s_or_b64 exec, exec, s[0:1]
	v_or_b32_e32 v23, 0x280, v0
	v_cmp_gt_u32_e32 vcc, s20, v23
	v_mov_b32_e32 v24, s3
	v_mov_b32_e32 v23, s2
	s_and_saveexec_b64 s[0:1], vcc
	s_cbranch_execz .LBB30_25
; %bb.24:
	v_add_co_u32_e32 v23, vcc, 0x1000, v3
	v_addc_co_u32_e32 v24, vcc, 0, v4, vcc
	global_load_dwordx2 v[23:24], v[23:24], off offset:1024
.LBB30_25:
	;; [unrolled: 12-line block ×5, first 2 shown]
	s_or_b64 exec, exec, s[0:1]
	s_waitcnt vmcnt(0)
	ds_write2st64_b64 v43, v[1:2], v[5:6] offset1:1
	ds_write2st64_b64 v43, v[7:8], v[9:10] offset0:2 offset1:3
	ds_write2st64_b64 v43, v[11:12], v[13:14] offset0:4 offset1:5
	;; [unrolled: 1-line block ×6, first 2 shown]
	s_waitcnt lgkmcnt(0)
	; wave barrier
.LBB30_32:
	v_mul_u32_u24_e32 v44, 0x70, v0
	ds_read_b128 v[25:28], v44
	ds_read_b128 v[21:24], v44 offset:16
	ds_read_b128 v[17:20], v44 offset:32
	;; [unrolled: 1-line block ×6, first 2 shown]
	s_load_dwordx2 s[8:9], s[4:5], 0x28
	s_cmp_lg_u32 s6, 0
	v_mbcnt_lo_u32_b32 v45, -1, 0
	s_waitcnt lgkmcnt(0)
	; wave barrier
	s_cbranch_scc0 .LBB30_92
; %bb.33:
	v_mul_lo_u32 v31, v28, v25
	v_mul_lo_u32 v32, v27, v26
	v_mad_u64_u32 v[29:30], s[0:1], v27, v25, 0
	v_mbcnt_hi_u32_b32 v40, -1, v45
	v_add3_u32 v31, v30, v32, v31
	v_mul_lo_u32 v32, v29, v22
	v_mad_u64_u32 v[29:30], s[0:1], v29, v21, 0
	v_mul_lo_u32 v31, v31, v21
	v_add3_u32 v31, v30, v32, v31
	v_mul_lo_u32 v32, v29, v24
	v_mad_u64_u32 v[29:30], s[0:1], v29, v23, 0
	v_mul_lo_u32 v31, v31, v23
	;; [unrolled: 4-line block ×12, first 2 shown]
	v_add3_u32 v30, v30, v32, v31
	v_and_b32_e32 v31, 15, v40
	v_mov_b32_dpp v32, v29 row_shr:1 row_mask:0xf bank_mask:0xf
	v_mov_b32_dpp v33, v30 row_shr:1 row_mask:0xf bank_mask:0xf
	v_cmp_ne_u32_e32 vcc, 0, v31
	s_and_saveexec_b64 s[0:1], vcc
	s_cbranch_execz .LBB30_35
; %bb.34:
	v_mul_lo_u32 v33, v33, v29
	v_mul_lo_u32 v34, v32, v30
	v_mad_u64_u32 v[29:30], s[2:3], v32, v29, 0
	v_add3_u32 v30, v30, v34, v33
.LBB30_35:
	s_or_b64 exec, exec, s[0:1]
	v_mov_b32_dpp v32, v29 row_shr:2 row_mask:0xf bank_mask:0xf
	v_mov_b32_dpp v33, v30 row_shr:2 row_mask:0xf bank_mask:0xf
	v_cmp_lt_u32_e32 vcc, 1, v31
	s_and_saveexec_b64 s[0:1], vcc
	s_cbranch_execz .LBB30_37
; %bb.36:
	v_mul_lo_u32 v33, v33, v29
	v_mul_lo_u32 v34, v32, v30
	v_mad_u64_u32 v[29:30], s[2:3], v32, v29, 0
	v_add3_u32 v30, v30, v34, v33
.LBB30_37:
	s_or_b64 exec, exec, s[0:1]
	v_mov_b32_dpp v32, v29 row_shr:4 row_mask:0xf bank_mask:0xf
	v_mov_b32_dpp v33, v30 row_shr:4 row_mask:0xf bank_mask:0xf
	v_cmp_lt_u32_e32 vcc, 3, v31
	;; [unrolled: 12-line block ×3, first 2 shown]
	s_and_saveexec_b64 s[0:1], vcc
	s_cbranch_execz .LBB30_41
; %bb.40:
	v_mul_lo_u32 v31, v33, v29
	v_mul_lo_u32 v33, v32, v30
	v_mad_u64_u32 v[29:30], s[2:3], v32, v29, 0
	v_add3_u32 v30, v30, v33, v31
.LBB30_41:
	s_or_b64 exec, exec, s[0:1]
	v_and_b32_e32 v33, 16, v40
	v_mov_b32_dpp v31, v29 row_bcast:15 row_mask:0xf bank_mask:0xf
	v_mov_b32_dpp v32, v30 row_bcast:15 row_mask:0xf bank_mask:0xf
	v_cmp_ne_u32_e32 vcc, 0, v33
	s_and_saveexec_b64 s[0:1], vcc
	s_cbranch_execz .LBB30_43
; %bb.42:
	v_mul_lo_u32 v32, v32, v29
	v_mul_lo_u32 v33, v31, v30
	v_mad_u64_u32 v[29:30], s[2:3], v31, v29, 0
	v_add3_u32 v30, v30, v33, v32
.LBB30_43:
	s_or_b64 exec, exec, s[0:1]
	v_mov_b32_dpp v31, v29 row_bcast:31 row_mask:0xf bank_mask:0xf
	v_mov_b32_dpp v32, v30 row_bcast:31 row_mask:0xf bank_mask:0xf
	v_cmp_lt_u32_e32 vcc, 31, v40
	s_and_saveexec_b64 s[0:1], vcc
	s_cbranch_execz .LBB30_45
; %bb.44:
	v_mul_lo_u32 v32, v32, v29
	v_mul_lo_u32 v33, v31, v30
	v_mad_u64_u32 v[29:30], s[2:3], v31, v29, 0
	v_add3_u32 v30, v30, v33, v32
.LBB30_45:
	s_or_b64 exec, exec, s[0:1]
	v_cmp_eq_u32_e32 vcc, 63, v0
	s_and_saveexec_b64 s[0:1], vcc
; %bb.46:
	v_mov_b32_e32 v31, 0
	ds_write_b64 v31, v[29:30]
; %bb.47:
	s_or_b64 exec, exec, s[0:1]
	v_subrev_co_u32_e64 v31, s[0:1], 1, v40
	v_and_b32_e32 v32, 64, v40
	v_cmp_lt_i32_e32 vcc, v31, v32
	v_cndmask_b32_e32 v31, v31, v40, vcc
	v_lshlrev_b32_e32 v31, 2, v31
	v_mov_b32_e32 v32, 0
	s_waitcnt lgkmcnt(0)
	; wave barrier
	ds_bpermute_b32 v46, v31, v29
	ds_bpermute_b32 v47, v31, v30
	ds_read_b64 v[29:30], v32
	s_and_saveexec_b64 s[2:3], s[0:1]
	s_cbranch_execz .LBB30_49
; %bb.48:
	s_add_i32 s12, s6, 64
	s_mov_b32 s13, 0
	s_lshl_b64 s[12:13], s[12:13], 4
	s_add_u32 s12, s8, s12
	s_addc_u32 s13, s9, s13
	v_mov_b32_e32 v34, s13
	v_mov_b32_e32 v31, 1
	;; [unrolled: 1-line block ×3, first 2 shown]
	s_waitcnt lgkmcnt(0)
	;;#ASMSTART
	global_store_dwordx4 v[33:34], v[29:32] off	
s_waitcnt vmcnt(0)
	;;#ASMEND
.LBB30_49:
	s_or_b64 exec, exec, s[2:3]
	v_xad_u32 v37, v40, -1, s6
	v_add_u32_e32 v31, 64, v37
	v_lshlrev_b64 v[33:34], 4, v[31:32]
	v_mov_b32_e32 v31, s9
	v_add_co_u32_e32 v38, vcc, s8, v33
	v_addc_co_u32_e32 v39, vcc, v31, v34, vcc
	;;#ASMSTART
	global_load_dwordx4 v[33:36], v[38:39] off glc	
s_waitcnt vmcnt(0)
	;;#ASMEND
	v_cmp_eq_u16_sdwa s[12:13], v35, v32 src0_sel:BYTE_0 src1_sel:DWORD
	s_and_saveexec_b64 s[2:3], s[12:13]
	s_cbranch_execz .LBB30_53
; %bb.50:
	s_mov_b64 s[12:13], 0
	v_mov_b32_e32 v31, 0
.LBB30_51:                              ; =>This Inner Loop Header: Depth=1
	;;#ASMSTART
	global_load_dwordx4 v[33:36], v[38:39] off glc	
s_waitcnt vmcnt(0)
	;;#ASMEND
	v_cmp_ne_u16_sdwa s[14:15], v35, v31 src0_sel:BYTE_0 src1_sel:DWORD
	s_or_b64 s[12:13], s[14:15], s[12:13]
	s_andn2_b64 exec, exec, s[12:13]
	s_cbranch_execnz .LBB30_51
; %bb.52:
	s_or_b64 exec, exec, s[12:13]
.LBB30_53:
	s_or_b64 exec, exec, s[2:3]
	v_and_b32_e32 v38, 63, v40
	v_mov_b32_e32 v36, 2
	v_lshlrev_b64 v[31:32], v40, -1
	v_cmp_ne_u32_e32 vcc, 63, v38
	v_cmp_eq_u16_sdwa s[2:3], v35, v36 src0_sel:BYTE_0 src1_sel:DWORD
	v_addc_co_u32_e32 v39, vcc, 0, v40, vcc
	v_and_b32_e32 v36, s3, v32
	v_lshlrev_b32_e32 v48, 2, v39
	v_or_b32_e32 v36, 0x80000000, v36
	ds_bpermute_b32 v39, v48, v33
	ds_bpermute_b32 v41, v48, v34
	v_and_b32_e32 v42, s2, v31
	v_ffbl_b32_e32 v36, v36
	v_add_u32_e32 v36, 32, v36
	v_ffbl_b32_e32 v42, v42
	v_min_u32_e32 v36, v42, v36
	v_add_u32_e32 v49, 1, v40
	v_cmp_le_u32_e32 vcc, v49, v36
	s_and_saveexec_b64 s[2:3], vcc
	s_cbranch_execz .LBB30_55
; %bb.54:
	s_waitcnt lgkmcnt(0)
	v_mul_lo_u32 v41, v41, v33
	v_mul_lo_u32 v42, v39, v34
	v_mad_u64_u32 v[33:34], s[12:13], v39, v33, 0
	v_add3_u32 v34, v34, v42, v41
.LBB30_55:
	s_or_b64 exec, exec, s[2:3]
	v_cmp_gt_u32_e32 vcc, 62, v38
	s_waitcnt lgkmcnt(1)
	v_cndmask_b32_e64 v39, 0, 2, vcc
	v_add_lshl_u32 v50, v39, v40, 2
	ds_bpermute_b32 v39, v50, v33
	s_waitcnt lgkmcnt(1)
	ds_bpermute_b32 v41, v50, v34
	v_add_u32_e32 v51, 2, v40
	v_cmp_le_u32_e32 vcc, v51, v36
	s_and_saveexec_b64 s[2:3], vcc
	s_cbranch_execz .LBB30_57
; %bb.56:
	s_waitcnt lgkmcnt(0)
	v_mul_lo_u32 v41, v41, v33
	v_mul_lo_u32 v42, v39, v34
	v_mad_u64_u32 v[33:34], s[12:13], v39, v33, 0
	v_add3_u32 v34, v34, v42, v41
.LBB30_57:
	s_or_b64 exec, exec, s[2:3]
	v_cmp_gt_u32_e32 vcc, 60, v38
	s_waitcnt lgkmcnt(1)
	v_cndmask_b32_e64 v39, 0, 4, vcc
	v_add_lshl_u32 v52, v39, v40, 2
	ds_bpermute_b32 v39, v52, v33
	s_waitcnt lgkmcnt(1)
	ds_bpermute_b32 v41, v52, v34
	v_add_u32_e32 v53, 4, v40
	v_cmp_le_u32_e32 vcc, v53, v36
	s_and_saveexec_b64 s[2:3], vcc
	s_cbranch_execz .LBB30_59
; %bb.58:
	s_waitcnt lgkmcnt(0)
	v_mul_lo_u32 v41, v41, v33
	v_mul_lo_u32 v42, v39, v34
	v_mad_u64_u32 v[33:34], s[12:13], v39, v33, 0
	v_add3_u32 v34, v34, v42, v41
.LBB30_59:
	s_or_b64 exec, exec, s[2:3]
	v_cmp_gt_u32_e32 vcc, 56, v38
	s_waitcnt lgkmcnt(1)
	v_cndmask_b32_e64 v39, 0, 8, vcc
	v_add_lshl_u32 v54, v39, v40, 2
	ds_bpermute_b32 v39, v54, v33
	s_waitcnt lgkmcnt(1)
	ds_bpermute_b32 v41, v54, v34
	v_add_u32_e32 v55, 8, v40
	v_cmp_le_u32_e32 vcc, v55, v36
	s_and_saveexec_b64 s[2:3], vcc
	s_cbranch_execz .LBB30_61
; %bb.60:
	s_waitcnt lgkmcnt(0)
	v_mul_lo_u32 v41, v41, v33
	v_mul_lo_u32 v42, v39, v34
	v_mad_u64_u32 v[33:34], s[12:13], v39, v33, 0
	v_add3_u32 v34, v34, v42, v41
.LBB30_61:
	s_or_b64 exec, exec, s[2:3]
	v_cmp_gt_u32_e32 vcc, 48, v38
	v_cndmask_b32_e64 v38, 0, 16, vcc
	v_add_lshl_u32 v56, v38, v40, 2
	ds_bpermute_b32 v38, v56, v33
	s_waitcnt lgkmcnt(2)
	ds_bpermute_b32 v39, v56, v34
	v_add_u32_e32 v57, 16, v40
	v_cmp_le_u32_e32 vcc, v57, v36
	s_and_saveexec_b64 s[2:3], vcc
	s_cbranch_execz .LBB30_63
; %bb.62:
	s_waitcnt lgkmcnt(0)
	v_mul_lo_u32 v39, v39, v33
	v_mul_lo_u32 v41, v38, v34
	v_mad_u64_u32 v[33:34], s[12:13], v38, v33, 0
	v_add3_u32 v34, v34, v41, v39
.LBB30_63:
	s_or_b64 exec, exec, s[2:3]
	s_waitcnt lgkmcnt(1)
	v_mov_b32_e32 v38, 0x80
	v_lshl_or_b32 v58, v40, 2, v38
	ds_bpermute_b32 v38, v58, v33
	s_waitcnt lgkmcnt(1)
	ds_bpermute_b32 v39, v58, v34
	v_add_u32_e32 v59, 32, v40
	v_cmp_le_u32_e32 vcc, v59, v36
	s_and_saveexec_b64 s[2:3], vcc
	s_cbranch_execz .LBB30_65
; %bb.64:
	s_waitcnt lgkmcnt(0)
	v_mul_lo_u32 v36, v39, v33
	v_mul_lo_u32 v39, v38, v34
	v_mad_u64_u32 v[33:34], s[12:13], v38, v33, 0
	v_add3_u32 v34, v34, v39, v36
.LBB30_65:
	s_or_b64 exec, exec, s[2:3]
	s_waitcnt lgkmcnt(1)
	v_mov_b32_e32 v38, 0
	v_mov_b32_e32 v60, 2
	s_branch .LBB30_68
.LBB30_66:                              ;   in Loop: Header=BB30_68 Depth=1
	s_or_b64 exec, exec, s[2:3]
	v_mul_lo_u32 v36, v34, v39
	s_waitcnt lgkmcnt(1)
	v_mul_lo_u32 v41, v33, v40
	v_mad_u64_u32 v[33:34], s[2:3], v33, v39, 0
	v_subrev_u32_e32 v37, 64, v37
	s_mov_b64 s[2:3], 0
	v_add3_u32 v34, v34, v41, v36
.LBB30_67:                              ;   in Loop: Header=BB30_68 Depth=1
	s_and_b64 vcc, exec, s[2:3]
	s_cbranch_vccnz .LBB30_85
.LBB30_68:                              ; =>This Loop Header: Depth=1
                                        ;     Child Loop BB30_71 Depth 2
	s_waitcnt lgkmcnt(0)
	v_mov_b32_e32 v40, v34
	v_cmp_ne_u16_sdwa s[2:3], v35, v60 src0_sel:BYTE_0 src1_sel:DWORD
	v_mov_b32_e32 v39, v33
	s_cmp_lg_u64 s[2:3], exec
	s_mov_b64 s[2:3], -1
                                        ; implicit-def: $vgpr33_vgpr34
	s_cbranch_scc1 .LBB30_67
; %bb.69:                               ;   in Loop: Header=BB30_68 Depth=1
	v_lshlrev_b64 v[33:34], 4, v[37:38]
	v_mov_b32_e32 v35, s9
	v_add_co_u32_e32 v41, vcc, s8, v33
	v_addc_co_u32_e32 v42, vcc, v35, v34, vcc
	;;#ASMSTART
	global_load_dwordx4 v[33:36], v[41:42] off glc	
s_waitcnt vmcnt(0)
	;;#ASMEND
	v_cmp_eq_u16_sdwa s[12:13], v35, v38 src0_sel:BYTE_0 src1_sel:DWORD
	s_and_saveexec_b64 s[2:3], s[12:13]
	s_cbranch_execz .LBB30_73
; %bb.70:                               ;   in Loop: Header=BB30_68 Depth=1
	s_mov_b64 s[12:13], 0
.LBB30_71:                              ;   Parent Loop BB30_68 Depth=1
                                        ; =>  This Inner Loop Header: Depth=2
	;;#ASMSTART
	global_load_dwordx4 v[33:36], v[41:42] off glc	
s_waitcnt vmcnt(0)
	;;#ASMEND
	v_cmp_ne_u16_sdwa s[14:15], v35, v38 src0_sel:BYTE_0 src1_sel:DWORD
	s_or_b64 s[12:13], s[14:15], s[12:13]
	s_andn2_b64 exec, exec, s[12:13]
	s_cbranch_execnz .LBB30_71
; %bb.72:                               ;   in Loop: Header=BB30_68 Depth=1
	s_or_b64 exec, exec, s[12:13]
.LBB30_73:                              ;   in Loop: Header=BB30_68 Depth=1
	s_or_b64 exec, exec, s[2:3]
	v_cmp_eq_u16_sdwa s[2:3], v35, v60 src0_sel:BYTE_0 src1_sel:DWORD
	v_and_b32_e32 v36, s3, v32
	v_or_b32_e32 v36, 0x80000000, v36
	ds_bpermute_b32 v41, v48, v33
	ds_bpermute_b32 v42, v48, v34
	v_and_b32_e32 v61, s2, v31
	v_ffbl_b32_e32 v36, v36
	v_add_u32_e32 v36, 32, v36
	v_ffbl_b32_e32 v61, v61
	v_min_u32_e32 v36, v61, v36
	v_cmp_le_u32_e32 vcc, v49, v36
	s_and_saveexec_b64 s[2:3], vcc
	s_cbranch_execz .LBB30_75
; %bb.74:                               ;   in Loop: Header=BB30_68 Depth=1
	s_waitcnt lgkmcnt(0)
	v_mul_lo_u32 v42, v42, v33
	v_mul_lo_u32 v61, v41, v34
	v_mad_u64_u32 v[33:34], s[12:13], v41, v33, 0
	v_add3_u32 v34, v34, v61, v42
.LBB30_75:                              ;   in Loop: Header=BB30_68 Depth=1
	s_or_b64 exec, exec, s[2:3]
	s_waitcnt lgkmcnt(1)
	ds_bpermute_b32 v41, v50, v33
	s_waitcnt lgkmcnt(1)
	ds_bpermute_b32 v42, v50, v34
	v_cmp_le_u32_e32 vcc, v51, v36
	s_and_saveexec_b64 s[2:3], vcc
	s_cbranch_execz .LBB30_77
; %bb.76:                               ;   in Loop: Header=BB30_68 Depth=1
	s_waitcnt lgkmcnt(0)
	v_mul_lo_u32 v42, v42, v33
	v_mul_lo_u32 v61, v41, v34
	v_mad_u64_u32 v[33:34], s[12:13], v41, v33, 0
	v_add3_u32 v34, v34, v61, v42
.LBB30_77:                              ;   in Loop: Header=BB30_68 Depth=1
	s_or_b64 exec, exec, s[2:3]
	s_waitcnt lgkmcnt(1)
	ds_bpermute_b32 v41, v52, v33
	s_waitcnt lgkmcnt(1)
	ds_bpermute_b32 v42, v52, v34
	;; [unrolled: 15-line block ×5, first 2 shown]
	v_cmp_le_u32_e32 vcc, v59, v36
	s_and_saveexec_b64 s[2:3], vcc
	s_cbranch_execz .LBB30_66
; %bb.84:                               ;   in Loop: Header=BB30_68 Depth=1
	s_waitcnt lgkmcnt(0)
	v_mul_lo_u32 v36, v42, v33
	v_mul_lo_u32 v42, v41, v34
	v_mad_u64_u32 v[33:34], s[12:13], v41, v33, 0
	v_add3_u32 v34, v34, v42, v36
	s_branch .LBB30_66
.LBB30_85:
	s_and_saveexec_b64 s[2:3], s[0:1]
	s_cbranch_execz .LBB30_87
; %bb.86:
	v_mul_lo_u32 v31, v40, v29
	v_mul_lo_u32 v32, v39, v30
	v_mad_u64_u32 v[29:30], s[0:1], v39, v29, 0
	s_add_i32 s0, s6, 64
	s_mov_b32 s1, 0
	s_lshl_b64 s[0:1], s[0:1], 4
	s_add_u32 s0, s8, s0
	s_addc_u32 s1, s9, s1
	v_mov_b32_e32 v34, s1
	v_add3_u32 v30, v30, v32, v31
	v_mov_b32_e32 v31, 2
	v_mov_b32_e32 v32, 0
	;; [unrolled: 1-line block ×3, first 2 shown]
	;;#ASMSTART
	global_store_dwordx4 v[33:34], v[29:32] off	
s_waitcnt vmcnt(0)
	;;#ASMEND
.LBB30_87:
	s_or_b64 exec, exec, s[2:3]
	v_cmp_ne_u32_e32 vcc, 0, v0
	v_cmp_eq_u32_e64 s[0:1], 0, v0
	s_and_saveexec_b64 s[2:3], s[0:1]
; %bb.88:
	v_mov_b32_e32 v29, 0
	ds_write_b64 v29, v[39:40]
; %bb.89:
	s_or_b64 exec, exec, s[2:3]
	v_mov_b32_e32 v29, 0
	s_waitcnt lgkmcnt(0)
	; wave barrier
	ds_read_b64 v[29:30], v29
	v_mov_b32_e32 v32, v26
	v_mov_b32_e32 v31, v25
	s_and_saveexec_b64 s[0:1], vcc
	s_cbranch_execz .LBB30_91
; %bb.90:
	v_mul_lo_u32 v33, v47, v25
	v_mul_lo_u32 v34, v46, v26
	v_mad_u64_u32 v[31:32], s[2:3], v46, v25, 0
	v_add3_u32 v32, v32, v34, v33
.LBB30_91:
	s_or_b64 exec, exec, s[0:1]
	s_waitcnt lgkmcnt(0)
	v_mul_lo_u32 v32, v32, v29
	v_mul_lo_u32 v33, v31, v30
	v_mad_u64_u32 v[29:30], s[0:1], v31, v29, 0
	v_add3_u32 v30, v30, v33, v32
	s_load_dwordx4 s[12:15], s[4:5], 0x38
	s_branch .LBB30_114
.LBB30_92:
                                        ; implicit-def: $vgpr29_vgpr30
	s_load_dwordx4 s[12:15], s[4:5], 0x38
	s_cbranch_execz .LBB30_114
; %bb.93:
	s_load_dword s2, s[4:5], 0x48
	v_cmp_eq_u32_e32 vcc, 0, v0
	v_cmp_ne_u32_e64 s[0:1], 0, v0
	s_waitcnt lgkmcnt(0)
	s_bitcmp1_b32 s2, 0
	s_cselect_b64 s[2:3], -1, 0
	s_and_b64 s[6:7], vcc, s[2:3]
	s_and_saveexec_b64 s[2:3], s[6:7]
	s_cbranch_execz .LBB30_95
; %bb.94:
	v_mov_b32_e32 v29, 0
	global_load_dwordx2 v[29:30], v29, s[12:13]
	s_waitcnt vmcnt(0)
	v_mul_lo_u32 v30, v30, v25
	v_mul_lo_u32 v31, v29, v26
	v_mad_u64_u32 v[25:26], s[6:7], v29, v25, 0
	v_add3_u32 v26, v26, v31, v30
.LBB30_95:
	s_or_b64 exec, exec, s[2:3]
	v_mul_lo_u32 v31, v22, v27
	v_mul_lo_u32 v32, v21, v28
	v_mad_u64_u32 v[29:30], s[2:3], v21, v27, 0
	v_add3_u32 v31, v30, v32, v31
	v_mul_lo_u32 v32, v29, v24
	v_mad_u64_u32 v[29:30], s[2:3], v29, v23, 0
	v_mul_lo_u32 v31, v31, v23
	v_add3_u32 v31, v30, v32, v31
	v_mul_lo_u32 v32, v29, v18
	v_mad_u64_u32 v[29:30], s[2:3], v29, v17, 0
	v_mul_lo_u32 v31, v31, v17
	;; [unrolled: 4-line block ×12, first 2 shown]
	s_nop 0
	v_mov_b32_dpp v33, v29 row_shr:1 row_mask:0xf bank_mask:0xf
	v_add3_u32 v30, v30, v32, v31
	v_mbcnt_hi_u32_b32 v31, -1, v45
	v_and_b32_e32 v32, 15, v31
	v_mov_b32_dpp v34, v30 row_shr:1 row_mask:0xf bank_mask:0xf
	v_cmp_ne_u32_e64 s[2:3], 0, v32
	s_and_saveexec_b64 s[6:7], s[2:3]
	s_cbranch_execz .LBB30_97
; %bb.96:
	v_mul_lo_u32 v34, v34, v29
	v_mul_lo_u32 v35, v33, v30
	v_mad_u64_u32 v[29:30], s[2:3], v33, v29, 0
	v_add3_u32 v30, v30, v35, v34
.LBB30_97:
	s_or_b64 exec, exec, s[6:7]
	v_mov_b32_dpp v33, v29 row_shr:2 row_mask:0xf bank_mask:0xf
	v_mov_b32_dpp v34, v30 row_shr:2 row_mask:0xf bank_mask:0xf
	v_cmp_lt_u32_e64 s[2:3], 1, v32
	s_and_saveexec_b64 s[6:7], s[2:3]
	s_cbranch_execz .LBB30_99
; %bb.98:
	v_mul_lo_u32 v34, v34, v29
	v_mul_lo_u32 v35, v33, v30
	v_mad_u64_u32 v[29:30], s[2:3], v33, v29, 0
	v_add3_u32 v30, v30, v35, v34
.LBB30_99:
	s_or_b64 exec, exec, s[6:7]
	v_mov_b32_dpp v33, v29 row_shr:4 row_mask:0xf bank_mask:0xf
	v_mov_b32_dpp v34, v30 row_shr:4 row_mask:0xf bank_mask:0xf
	v_cmp_lt_u32_e64 s[2:3], 3, v32
	;; [unrolled: 12-line block ×3, first 2 shown]
	s_and_saveexec_b64 s[6:7], s[2:3]
	s_cbranch_execz .LBB30_103
; %bb.102:
	v_mul_lo_u32 v32, v34, v29
	v_mul_lo_u32 v34, v33, v30
	v_mad_u64_u32 v[29:30], s[2:3], v33, v29, 0
	v_add3_u32 v30, v30, v34, v32
.LBB30_103:
	s_or_b64 exec, exec, s[6:7]
	v_and_b32_e32 v34, 16, v31
	v_mov_b32_dpp v32, v29 row_bcast:15 row_mask:0xf bank_mask:0xf
	v_mov_b32_dpp v33, v30 row_bcast:15 row_mask:0xf bank_mask:0xf
	v_cmp_ne_u32_e64 s[2:3], 0, v34
	s_and_saveexec_b64 s[6:7], s[2:3]
	s_cbranch_execz .LBB30_105
; %bb.104:
	v_mul_lo_u32 v33, v33, v29
	v_mul_lo_u32 v34, v32, v30
	v_mad_u64_u32 v[29:30], s[2:3], v32, v29, 0
	v_add3_u32 v30, v30, v34, v33
.LBB30_105:
	s_or_b64 exec, exec, s[6:7]
	v_mov_b32_dpp v32, v29 row_bcast:31 row_mask:0xf bank_mask:0xf
	v_mov_b32_dpp v33, v30 row_bcast:31 row_mask:0xf bank_mask:0xf
	v_cmp_lt_u32_e64 s[2:3], 31, v31
	s_and_saveexec_b64 s[6:7], s[2:3]
	s_cbranch_execz .LBB30_107
; %bb.106:
	v_mul_lo_u32 v33, v33, v29
	v_mul_lo_u32 v34, v32, v30
	v_mad_u64_u32 v[29:30], s[2:3], v32, v29, 0
	v_add3_u32 v30, v30, v34, v33
.LBB30_107:
	s_or_b64 exec, exec, s[6:7]
	v_cmp_eq_u32_e64 s[2:3], 63, v0
	s_and_saveexec_b64 s[6:7], s[2:3]
; %bb.108:
	v_mov_b32_e32 v32, 0
	ds_write_b64 v32, v[29:30]
; %bb.109:
	s_or_b64 exec, exec, s[6:7]
	v_add_u32_e32 v32, -1, v31
	v_and_b32_e32 v33, 64, v31
	v_cmp_lt_i32_e64 s[2:3], v32, v33
	v_cndmask_b32_e64 v31, v32, v31, s[2:3]
	v_lshlrev_b32_e32 v31, 2, v31
	ds_bpermute_b32 v29, v31, v29
	ds_bpermute_b32 v30, v31, v30
	s_waitcnt lgkmcnt(0)
	; wave barrier
	s_and_saveexec_b64 s[2:3], s[0:1]
	s_cbranch_execz .LBB30_111
; %bb.110:
	v_mul_lo_u32 v30, v30, v25
	v_mul_lo_u32 v31, v29, v26
	v_mad_u64_u32 v[25:26], s[0:1], v29, v25, 0
	v_add3_u32 v26, v26, v31, v30
.LBB30_111:
	s_or_b64 exec, exec, s[2:3]
	s_and_saveexec_b64 s[0:1], vcc
	s_cbranch_execz .LBB30_113
; %bb.112:
	s_add_u32 s2, s8, 0x400
	s_addc_u32 s3, s9, 0
	v_mov_b32_e32 v32, 0
	v_mov_b32_e32 v34, s3
	ds_read_b64 v[29:30], v32
	v_mov_b32_e32 v31, 2
	v_mov_b32_e32 v33, s2
	s_waitcnt lgkmcnt(0)
	;;#ASMSTART
	global_store_dwordx4 v[33:34], v[29:32] off	
s_waitcnt vmcnt(0)
	;;#ASMEND
.LBB30_113:
	s_or_b64 exec, exec, s[0:1]
	v_mov_b32_e32 v30, v26
	v_mov_b32_e32 v29, v25
.LBB30_114:
	v_mul_lo_u32 v25, v30, v27
	v_mul_lo_u32 v26, v29, v28
	v_mad_u64_u32 v[31:32], s[0:1], v29, v27, 0
	s_mov_b64 s[2:3], -1
	s_waitcnt lgkmcnt(0)
	v_add3_u32 v32, v32, v26, v25
	v_mul_lo_u32 v22, v31, v22
	v_mad_u64_u32 v[25:26], s[0:1], v31, v21, 0
	v_mul_lo_u32 v21, v32, v21
	; wave barrier
	v_mad_u64_u32 v[27:28], s[0:1], v25, v23, 0
	v_add3_u32 v26, v26, v22, v21
	v_mul_lo_u32 v21, v25, v24
	v_mul_lo_u32 v22, v26, v23
	v_mul_lo_u32 v18, v27, v18
	v_add3_u32 v28, v28, v21, v22
	v_mad_u64_u32 v[21:22], s[0:1], v27, v17, 0
	v_mul_lo_u32 v17, v28, v17
	v_mad_u64_u32 v[23:24], s[0:1], v21, v19, 0
	v_add3_u32 v22, v22, v18, v17
	v_mul_lo_u32 v17, v21, v20
	v_mul_lo_u32 v18, v22, v19
	v_mul_lo_u32 v14, v23, v14
	v_add3_u32 v24, v24, v17, v18
	v_mad_u64_u32 v[17:18], s[0:1], v23, v13, 0
	v_mul_lo_u32 v13, v24, v13
	;; [unrolled: 8-line block ×5, first 2 shown]
	v_mad_u64_u32 v[7:8], s[0:1], v5, v3, 0
	v_add3_u32 v6, v6, v2, v1
	v_mul_lo_u32 v1, v5, v4
	v_mul_lo_u32 v2, v6, v3
	s_add_u32 s0, s10, s18
	s_addc_u32 s1, s11, s19
	s_and_b64 vcc, exec, s[16:17]
	v_add3_u32 v8, v8, v1, v2
	s_cbranch_vccz .LBB30_116
; %bb.115:
	ds_write_b128 v44, v[29:32]
	ds_write_b128 v44, v[25:28] offset:16
	ds_write_b128 v44, v[21:24] offset:32
	;; [unrolled: 1-line block ×6, first 2 shown]
	s_waitcnt lgkmcnt(0)
	; wave barrier
	ds_read2st64_b64 v[1:4], v43 offset1:1
	ds_read2st64_b64 v[33:36], v43 offset0:2 offset1:3
	ds_read2st64_b64 v[37:40], v43 offset0:4 offset1:5
	;; [unrolled: 1-line block ×6, first 2 shown]
	v_mov_b32_e32 v41, s1
	v_add_co_u32_e32 v42, vcc, s0, v43
	v_addc_co_u32_e32 v41, vcc, 0, v41, vcc
	s_waitcnt lgkmcnt(6)
	global_store_dwordx2 v43, v[1:2], s[0:1]
	global_store_dwordx2 v43, v[3:4], s[0:1] offset:512
	s_waitcnt lgkmcnt(5)
	global_store_dwordx2 v43, v[33:34], s[0:1] offset:1024
	global_store_dwordx2 v43, v[35:36], s[0:1] offset:1536
	s_waitcnt lgkmcnt(4)
	global_store_dwordx2 v43, v[37:38], s[0:1] offset:2048
	;; [unrolled: 3-line block ×3, first 2 shown]
	global_store_dwordx2 v43, v[47:48], s[0:1] offset:3584
	v_add_co_u32_e32 v1, vcc, 0x1000, v42
	v_addc_co_u32_e32 v2, vcc, 0, v41, vcc
	s_waitcnt lgkmcnt(2)
	global_store_dwordx2 v[1:2], v[49:50], off
	global_store_dwordx2 v[1:2], v[51:52], off offset:512
	s_waitcnt lgkmcnt(1)
	global_store_dwordx2 v[1:2], v[53:54], off offset:1024
	global_store_dwordx2 v[1:2], v[55:56], off offset:1536
	s_waitcnt lgkmcnt(0)
	global_store_dwordx2 v[1:2], v[57:58], off offset:2048
	global_store_dwordx2 v[1:2], v[59:60], off offset:2560
	s_mov_b64 s[2:3], 0
.LBB30_116:
	s_andn2_b64 vcc, exec, s[2:3]
	s_cbranch_vccnz .LBB30_196
; %bb.117:
	ds_write_b128 v44, v[29:32]
	ds_write_b128 v44, v[25:28] offset:16
	ds_write_b128 v44, v[21:24] offset:32
	;; [unrolled: 1-line block ×6, first 2 shown]
	s_waitcnt lgkmcnt(0)
	; wave barrier
	ds_read2st64_b64 v[6:9], v43 offset1:1
	ds_read2st64_b64 v[10:13], v43 offset0:2 offset1:3
	ds_read2st64_b64 v[14:17], v43 offset0:4 offset1:5
	ds_read2st64_b64 v[2:5], v43 offset0:6 offset1:7
	ds_read2st64_b64 v[22:25], v43 offset0:8 offset1:9
	ds_read2st64_b64 v[18:21], v43 offset0:10 offset1:11
	ds_read2st64_b64 v[26:29], v43 offset0:12 offset1:13
	v_mov_b32_e32 v31, s1
	v_add_co_u32_e32 v30, vcc, s0, v43
	v_addc_co_u32_e32 v31, vcc, 0, v31, vcc
	v_mov_b32_e32 v1, 0
	v_cmp_gt_u32_e32 vcc, s20, v0
	s_and_saveexec_b64 s[0:1], vcc
	s_cbranch_execz .LBB30_119
; %bb.118:
	s_waitcnt lgkmcnt(6)
	global_store_dwordx2 v[30:31], v[6:7], off
.LBB30_119:
	s_or_b64 exec, exec, s[0:1]
	v_or_b32_e32 v32, 64, v0
	v_cmp_gt_u32_e32 vcc, s20, v32
	s_and_saveexec_b64 s[0:1], vcc
	s_cbranch_execz .LBB30_121
; %bb.120:
	s_waitcnt lgkmcnt(6)
	global_store_dwordx2 v[30:31], v[8:9], off offset:512
.LBB30_121:
	s_or_b64 exec, exec, s[0:1]
	v_or_b32_e32 v32, 0x80, v0
	v_cmp_gt_u32_e32 vcc, s20, v32
	s_and_saveexec_b64 s[0:1], vcc
	s_cbranch_execz .LBB30_123
; %bb.122:
	s_waitcnt lgkmcnt(5)
	global_store_dwordx2 v[30:31], v[10:11], off offset:1024
.LBB30_123:
	;; [unrolled: 9-line block ×7, first 2 shown]
	s_or_b64 exec, exec, s[0:1]
	v_or_b32_e32 v32, 0x200, v0
	v_cmp_gt_u32_e32 vcc, s20, v32
	s_and_saveexec_b64 s[0:1], vcc
	s_cbranch_execz .LBB30_135
; %bb.134:
	v_add_co_u32_e32 v32, vcc, 0x1000, v30
	v_addc_co_u32_e32 v33, vcc, 0, v31, vcc
	s_waitcnt lgkmcnt(2)
	global_store_dwordx2 v[32:33], v[22:23], off
.LBB30_135:
	s_or_b64 exec, exec, s[0:1]
	v_or_b32_e32 v32, 0x240, v0
	v_cmp_gt_u32_e32 vcc, s20, v32
	s_and_saveexec_b64 s[0:1], vcc
	s_cbranch_execz .LBB30_137
; %bb.136:
	v_add_co_u32_e32 v32, vcc, 0x1000, v30
	v_addc_co_u32_e32 v33, vcc, 0, v31, vcc
	s_waitcnt lgkmcnt(2)
	global_store_dwordx2 v[32:33], v[24:25], off offset:512
.LBB30_137:
	s_or_b64 exec, exec, s[0:1]
	v_or_b32_e32 v32, 0x280, v0
	v_cmp_gt_u32_e32 vcc, s20, v32
	s_and_saveexec_b64 s[0:1], vcc
	s_cbranch_execz .LBB30_139
; %bb.138:
	v_add_co_u32_e32 v32, vcc, 0x1000, v30
	v_addc_co_u32_e32 v33, vcc, 0, v31, vcc
	s_waitcnt lgkmcnt(1)
	global_store_dwordx2 v[32:33], v[18:19], off offset:1024
.LBB30_139:
	;; [unrolled: 11-line block ×5, first 2 shown]
	s_or_b64 exec, exec, s[0:1]
	s_load_dword s0, s[4:5], 0x48
	s_waitcnt lgkmcnt(0)
	s_bfe_u32 s0, s0, 0x10008
	s_cmp_eq_u32 s0, 0
	s_cbranch_scc1 .LBB30_196
; %bb.146:
	s_add_u32 s0, s20, -1
	s_addc_u32 s1, s21, -1
	s_lshr_b64 s[2:3], s[0:1], 1
	s_lshr_b32 s5, s1, 1
	s_mul_hi_u32 s3, s2, 0x49249249
	s_mul_i32 s4, s2, 0x49249249
	s_mul_i32 s7, s5, 0x24924925
	s_mul_hi_u32 s2, s2, 0x24924925
	s_mul_hi_u32 s6, s5, 0x24924925
	s_add_u32 s2, s7, s2
	s_addc_u32 s6, s6, 0
	s_add_u32 s2, s4, s2
	s_addc_u32 s2, s3, 0
	;; [unrolled: 2-line block ×3, first 2 shown]
	s_mul_hi_u32 s4, s5, 0x49249249
	s_mul_i32 s5, s5, 0x49249249
	s_add_u32 s2, s5, s2
	s_addc_u32 s3, s4, s3
	s_lshr_b64 s[2:3], s[2:3], 1
	v_cmp_eq_u64_e32 vcc, s[2:3], v[0:1]
	s_and_saveexec_b64 s[2:3], vcc
	s_cbranch_execz .LBB30_196
; %bb.147:
	v_mul_hi_u32_u24_e32 v1, 14, v0
	v_mul_u32_u24_e32 v0, 14, v0
	v_mov_b32_e32 v30, s1
	v_sub_co_u32_e32 v0, vcc, s0, v0
	v_subb_co_u32_e32 v1, vcc, v30, v1, vcc
	v_cmp_lt_i64_e32 vcc, 6, v[0:1]
	s_and_saveexec_b64 s[0:1], vcc
	s_xor_b64 s[0:1], exec, s[0:1]
	s_cbranch_execz .LBB30_173
; %bb.148:
	v_cmp_lt_i64_e32 vcc, 9, v[0:1]
	s_and_saveexec_b64 s[2:3], vcc
	s_xor_b64 s[2:3], exec, s[2:3]
	s_cbranch_execz .LBB30_162
; %bb.149:
	;; [unrolled: 5-line block ×4, first 2 shown]
	v_mov_b32_e32 v0, 0
	global_store_dwordx2 v0, v[28:29], s[14:15]
                                        ; implicit-def: $vgpr26_vgpr27_vgpr28_vgpr29
.LBB30_152:
	s_andn2_saveexec_b64 s[6:7], s[6:7]
	s_cbranch_execz .LBB30_154
; %bb.153:
	v_mov_b32_e32 v0, 0
	global_store_dwordx2 v0, v[26:27], s[14:15]
.LBB30_154:
	s_or_b64 exec, exec, s[6:7]
                                        ; implicit-def: $vgpr18_vgpr19_vgpr20_vgpr21
                                        ; implicit-def: $vgpr0_vgpr1
.LBB30_155:
	s_andn2_saveexec_b64 s[4:5], s[4:5]
	s_cbranch_execz .LBB30_161
; %bb.156:
	v_cmp_lt_i64_e32 vcc, 10, v[0:1]
	s_and_saveexec_b64 s[6:7], vcc
	s_xor_b64 s[6:7], exec, s[6:7]
	s_cbranch_execz .LBB30_158
; %bb.157:
	v_mov_b32_e32 v0, 0
	global_store_dwordx2 v0, v[20:21], s[14:15]
                                        ; implicit-def: $vgpr18_vgpr19_vgpr20_vgpr21
.LBB30_158:
	s_andn2_saveexec_b64 s[6:7], s[6:7]
	s_cbranch_execz .LBB30_160
; %bb.159:
	v_mov_b32_e32 v0, 0
	global_store_dwordx2 v0, v[18:19], s[14:15]
.LBB30_160:
	s_or_b64 exec, exec, s[6:7]
.LBB30_161:
	s_or_b64 exec, exec, s[4:5]
                                        ; implicit-def: $vgpr2_vgpr3_vgpr4_vgpr5
                                        ; implicit-def: $vgpr0_vgpr1
                                        ; implicit-def: $vgpr22_vgpr23_vgpr24_vgpr25
.LBB30_162:
	s_andn2_saveexec_b64 s[2:3], s[2:3]
	s_cbranch_execz .LBB30_172
; %bb.163:
	v_cmp_lt_i64_e32 vcc, 7, v[0:1]
	s_and_saveexec_b64 s[4:5], vcc
	s_xor_b64 s[4:5], exec, s[4:5]
	s_cbranch_execz .LBB30_169
; %bb.164:
	v_cmp_lt_i64_e32 vcc, 8, v[0:1]
	s_and_saveexec_b64 s[6:7], vcc
	s_xor_b64 s[6:7], exec, s[6:7]
	s_cbranch_execz .LBB30_166
; %bb.165:
	v_mov_b32_e32 v0, 0
	global_store_dwordx2 v0, v[24:25], s[14:15]
                                        ; implicit-def: $vgpr22_vgpr23_vgpr24_vgpr25
.LBB30_166:
	s_andn2_saveexec_b64 s[6:7], s[6:7]
	s_cbranch_execz .LBB30_168
; %bb.167:
	v_mov_b32_e32 v0, 0
	global_store_dwordx2 v0, v[22:23], s[14:15]
.LBB30_168:
	s_or_b64 exec, exec, s[6:7]
                                        ; implicit-def: $vgpr2_vgpr3_vgpr4_vgpr5
.LBB30_169:
	s_andn2_saveexec_b64 s[4:5], s[4:5]
	s_cbranch_execz .LBB30_171
; %bb.170:
	v_mov_b32_e32 v0, 0
	global_store_dwordx2 v0, v[4:5], s[14:15]
.LBB30_171:
	s_or_b64 exec, exec, s[4:5]
.LBB30_172:
	s_or_b64 exec, exec, s[2:3]
                                        ; implicit-def: $vgpr0_vgpr1
                                        ; implicit-def: $vgpr14_vgpr15_vgpr16_vgpr17
                                        ; implicit-def: $vgpr6_vgpr7_vgpr8_vgpr9
                                        ; implicit-def: $vgpr10_vgpr11_vgpr12_vgpr13
                                        ; implicit-def: $vgpr2_vgpr3_vgpr4_vgpr5
.LBB30_173:
	s_andn2_saveexec_b64 s[0:1], s[0:1]
	s_cbranch_execz .LBB30_196
; %bb.174:
	v_cmp_lt_i64_e32 vcc, 3, v[0:1]
	s_and_saveexec_b64 s[0:1], vcc
	s_xor_b64 s[0:1], exec, s[0:1]
	s_cbranch_execz .LBB30_184
; %bb.175:
	v_cmp_lt_i64_e32 vcc, 4, v[0:1]
	s_and_saveexec_b64 s[2:3], vcc
	s_xor_b64 s[2:3], exec, s[2:3]
	;; [unrolled: 5-line block ×3, first 2 shown]
	s_cbranch_execz .LBB30_178
; %bb.177:
	v_mov_b32_e32 v0, 0
	global_store_dwordx2 v0, v[2:3], s[14:15]
                                        ; implicit-def: $vgpr14_vgpr15_vgpr16_vgpr17
.LBB30_178:
	s_andn2_saveexec_b64 s[4:5], s[4:5]
	s_cbranch_execz .LBB30_180
; %bb.179:
	v_mov_b32_e32 v0, 0
	global_store_dwordx2 v0, v[16:17], s[14:15]
.LBB30_180:
	s_or_b64 exec, exec, s[4:5]
                                        ; implicit-def: $vgpr14_vgpr15_vgpr16_vgpr17
.LBB30_181:
	s_andn2_saveexec_b64 s[2:3], s[2:3]
	s_cbranch_execz .LBB30_183
; %bb.182:
	v_mov_b32_e32 v0, 0
	global_store_dwordx2 v0, v[14:15], s[14:15]
.LBB30_183:
	s_or_b64 exec, exec, s[2:3]
                                        ; implicit-def: $vgpr0_vgpr1
                                        ; implicit-def: $vgpr6_vgpr7_vgpr8_vgpr9
                                        ; implicit-def: $vgpr10_vgpr11_vgpr12_vgpr13
.LBB30_184:
	s_andn2_saveexec_b64 s[0:1], s[0:1]
	s_cbranch_execz .LBB30_196
; %bb.185:
	v_cmp_lt_i64_e32 vcc, 1, v[0:1]
	s_and_saveexec_b64 s[0:1], vcc
	s_xor_b64 s[0:1], exec, s[0:1]
	s_cbranch_execz .LBB30_191
; %bb.186:
	v_cmp_lt_i64_e32 vcc, 2, v[0:1]
	s_and_saveexec_b64 s[2:3], vcc
	s_xor_b64 s[2:3], exec, s[2:3]
	s_cbranch_execz .LBB30_188
; %bb.187:
	v_mov_b32_e32 v0, 0
	global_store_dwordx2 v0, v[12:13], s[14:15]
                                        ; implicit-def: $vgpr10_vgpr11_vgpr12_vgpr13
.LBB30_188:
	s_andn2_saveexec_b64 s[2:3], s[2:3]
	s_cbranch_execz .LBB30_190
; %bb.189:
	v_mov_b32_e32 v0, 0
	global_store_dwordx2 v0, v[10:11], s[14:15]
.LBB30_190:
	s_or_b64 exec, exec, s[2:3]
                                        ; implicit-def: $vgpr6_vgpr7_vgpr8_vgpr9
                                        ; implicit-def: $vgpr0_vgpr1
.LBB30_191:
	s_andn2_saveexec_b64 s[0:1], s[0:1]
	s_cbranch_execz .LBB30_196
; %bb.192:
	v_cmp_ne_u64_e32 vcc, 1, v[0:1]
	s_and_saveexec_b64 s[0:1], vcc
	s_xor_b64 s[0:1], exec, s[0:1]
	s_cbranch_execz .LBB30_194
; %bb.193:
	v_mov_b32_e32 v0, 0
	global_store_dwordx2 v0, v[6:7], s[14:15]
                                        ; implicit-def: $vgpr6_vgpr7_vgpr8_vgpr9
.LBB30_194:
	s_andn2_saveexec_b64 s[0:1], s[0:1]
	s_cbranch_execz .LBB30_196
; %bb.195:
	v_mov_b32_e32 v0, 0
	global_store_dwordx2 v0, v[8:9], s[14:15]
.LBB30_196:
	s_endpgm
	.section	.rodata,"a",@progbits
	.p2align	6, 0x0
	.amdhsa_kernel _ZN7rocprim17ROCPRIM_304000_NS6detail20lookback_scan_kernelILNS1_25lookback_scan_determinismE0ELb0ENS1_19wrapped_scan_configINS0_14default_configElEEPKlPlSt10multipliesIlEllNS1_19lookback_scan_stateIlLb0ELb1EEEEEvT2_T3_mT5_T4_T7_jPT6_SK_bb
		.amdhsa_group_segment_fixed_size 7168
		.amdhsa_private_segment_fixed_size 0
		.amdhsa_kernarg_size 76
		.amdhsa_user_sgpr_count 6
		.amdhsa_user_sgpr_private_segment_buffer 1
		.amdhsa_user_sgpr_dispatch_ptr 0
		.amdhsa_user_sgpr_queue_ptr 0
		.amdhsa_user_sgpr_kernarg_segment_ptr 1
		.amdhsa_user_sgpr_dispatch_id 0
		.amdhsa_user_sgpr_flat_scratch_init 0
		.amdhsa_user_sgpr_private_segment_size 0
		.amdhsa_uses_dynamic_stack 0
		.amdhsa_system_sgpr_private_segment_wavefront_offset 0
		.amdhsa_system_sgpr_workgroup_id_x 1
		.amdhsa_system_sgpr_workgroup_id_y 0
		.amdhsa_system_sgpr_workgroup_id_z 0
		.amdhsa_system_sgpr_workgroup_info 0
		.amdhsa_system_vgpr_workitem_id 0
		.amdhsa_next_free_vgpr 65
		.amdhsa_next_free_sgpr 98
		.amdhsa_reserve_vcc 1
		.amdhsa_reserve_flat_scratch 0
		.amdhsa_float_round_mode_32 0
		.amdhsa_float_round_mode_16_64 0
		.amdhsa_float_denorm_mode_32 3
		.amdhsa_float_denorm_mode_16_64 3
		.amdhsa_dx10_clamp 1
		.amdhsa_ieee_mode 1
		.amdhsa_fp16_overflow 0
		.amdhsa_exception_fp_ieee_invalid_op 0
		.amdhsa_exception_fp_denorm_src 0
		.amdhsa_exception_fp_ieee_div_zero 0
		.amdhsa_exception_fp_ieee_overflow 0
		.amdhsa_exception_fp_ieee_underflow 0
		.amdhsa_exception_fp_ieee_inexact 0
		.amdhsa_exception_int_div_zero 0
	.end_amdhsa_kernel
	.section	.text._ZN7rocprim17ROCPRIM_304000_NS6detail20lookback_scan_kernelILNS1_25lookback_scan_determinismE0ELb0ENS1_19wrapped_scan_configINS0_14default_configElEEPKlPlSt10multipliesIlEllNS1_19lookback_scan_stateIlLb0ELb1EEEEEvT2_T3_mT5_T4_T7_jPT6_SK_bb,"axG",@progbits,_ZN7rocprim17ROCPRIM_304000_NS6detail20lookback_scan_kernelILNS1_25lookback_scan_determinismE0ELb0ENS1_19wrapped_scan_configINS0_14default_configElEEPKlPlSt10multipliesIlEllNS1_19lookback_scan_stateIlLb0ELb1EEEEEvT2_T3_mT5_T4_T7_jPT6_SK_bb,comdat
.Lfunc_end30:
	.size	_ZN7rocprim17ROCPRIM_304000_NS6detail20lookback_scan_kernelILNS1_25lookback_scan_determinismE0ELb0ENS1_19wrapped_scan_configINS0_14default_configElEEPKlPlSt10multipliesIlEllNS1_19lookback_scan_stateIlLb0ELb1EEEEEvT2_T3_mT5_T4_T7_jPT6_SK_bb, .Lfunc_end30-_ZN7rocprim17ROCPRIM_304000_NS6detail20lookback_scan_kernelILNS1_25lookback_scan_determinismE0ELb0ENS1_19wrapped_scan_configINS0_14default_configElEEPKlPlSt10multipliesIlEllNS1_19lookback_scan_stateIlLb0ELb1EEEEEvT2_T3_mT5_T4_T7_jPT6_SK_bb
                                        ; -- End function
	.set _ZN7rocprim17ROCPRIM_304000_NS6detail20lookback_scan_kernelILNS1_25lookback_scan_determinismE0ELb0ENS1_19wrapped_scan_configINS0_14default_configElEEPKlPlSt10multipliesIlEllNS1_19lookback_scan_stateIlLb0ELb1EEEEEvT2_T3_mT5_T4_T7_jPT6_SK_bb.num_vgpr, 62
	.set _ZN7rocprim17ROCPRIM_304000_NS6detail20lookback_scan_kernelILNS1_25lookback_scan_determinismE0ELb0ENS1_19wrapped_scan_configINS0_14default_configElEEPKlPlSt10multipliesIlEllNS1_19lookback_scan_stateIlLb0ELb1EEEEEvT2_T3_mT5_T4_T7_jPT6_SK_bb.num_agpr, 0
	.set _ZN7rocprim17ROCPRIM_304000_NS6detail20lookback_scan_kernelILNS1_25lookback_scan_determinismE0ELb0ENS1_19wrapped_scan_configINS0_14default_configElEEPKlPlSt10multipliesIlEllNS1_19lookback_scan_stateIlLb0ELb1EEEEEvT2_T3_mT5_T4_T7_jPT6_SK_bb.numbered_sgpr, 22
	.set _ZN7rocprim17ROCPRIM_304000_NS6detail20lookback_scan_kernelILNS1_25lookback_scan_determinismE0ELb0ENS1_19wrapped_scan_configINS0_14default_configElEEPKlPlSt10multipliesIlEllNS1_19lookback_scan_stateIlLb0ELb1EEEEEvT2_T3_mT5_T4_T7_jPT6_SK_bb.num_named_barrier, 0
	.set _ZN7rocprim17ROCPRIM_304000_NS6detail20lookback_scan_kernelILNS1_25lookback_scan_determinismE0ELb0ENS1_19wrapped_scan_configINS0_14default_configElEEPKlPlSt10multipliesIlEllNS1_19lookback_scan_stateIlLb0ELb1EEEEEvT2_T3_mT5_T4_T7_jPT6_SK_bb.private_seg_size, 0
	.set _ZN7rocprim17ROCPRIM_304000_NS6detail20lookback_scan_kernelILNS1_25lookback_scan_determinismE0ELb0ENS1_19wrapped_scan_configINS0_14default_configElEEPKlPlSt10multipliesIlEllNS1_19lookback_scan_stateIlLb0ELb1EEEEEvT2_T3_mT5_T4_T7_jPT6_SK_bb.uses_vcc, 1
	.set _ZN7rocprim17ROCPRIM_304000_NS6detail20lookback_scan_kernelILNS1_25lookback_scan_determinismE0ELb0ENS1_19wrapped_scan_configINS0_14default_configElEEPKlPlSt10multipliesIlEllNS1_19lookback_scan_stateIlLb0ELb1EEEEEvT2_T3_mT5_T4_T7_jPT6_SK_bb.uses_flat_scratch, 0
	.set _ZN7rocprim17ROCPRIM_304000_NS6detail20lookback_scan_kernelILNS1_25lookback_scan_determinismE0ELb0ENS1_19wrapped_scan_configINS0_14default_configElEEPKlPlSt10multipliesIlEllNS1_19lookback_scan_stateIlLb0ELb1EEEEEvT2_T3_mT5_T4_T7_jPT6_SK_bb.has_dyn_sized_stack, 0
	.set _ZN7rocprim17ROCPRIM_304000_NS6detail20lookback_scan_kernelILNS1_25lookback_scan_determinismE0ELb0ENS1_19wrapped_scan_configINS0_14default_configElEEPKlPlSt10multipliesIlEllNS1_19lookback_scan_stateIlLb0ELb1EEEEEvT2_T3_mT5_T4_T7_jPT6_SK_bb.has_recursion, 0
	.set _ZN7rocprim17ROCPRIM_304000_NS6detail20lookback_scan_kernelILNS1_25lookback_scan_determinismE0ELb0ENS1_19wrapped_scan_configINS0_14default_configElEEPKlPlSt10multipliesIlEllNS1_19lookback_scan_stateIlLb0ELb1EEEEEvT2_T3_mT5_T4_T7_jPT6_SK_bb.has_indirect_call, 0
	.section	.AMDGPU.csdata,"",@progbits
; Kernel info:
; codeLenInByte = 7044
; TotalNumSgprs: 26
; NumVgprs: 62
; ScratchSize: 0
; MemoryBound: 0
; FloatMode: 240
; IeeeMode: 1
; LDSByteSize: 7168 bytes/workgroup (compile time only)
; SGPRBlocks: 12
; VGPRBlocks: 16
; NumSGPRsForWavesPerEU: 102
; NumVGPRsForWavesPerEU: 65
; Occupancy: 3
; WaveLimiterHint : 1
; COMPUTE_PGM_RSRC2:SCRATCH_EN: 0
; COMPUTE_PGM_RSRC2:USER_SGPR: 6
; COMPUTE_PGM_RSRC2:TRAP_HANDLER: 0
; COMPUTE_PGM_RSRC2:TGID_X_EN: 1
; COMPUTE_PGM_RSRC2:TGID_Y_EN: 0
; COMPUTE_PGM_RSRC2:TGID_Z_EN: 0
; COMPUTE_PGM_RSRC2:TIDIG_COMP_CNT: 0
	.section	.text._ZN7rocprim17ROCPRIM_304000_NS6detail16transform_kernelINS1_24wrapped_transform_configINS0_14default_configElEElPlS6_NS0_8identityIlEEEEvT1_mT2_T3_,"axG",@progbits,_ZN7rocprim17ROCPRIM_304000_NS6detail16transform_kernelINS1_24wrapped_transform_configINS0_14default_configElEElPlS6_NS0_8identityIlEEEEvT1_mT2_T3_,comdat
	.protected	_ZN7rocprim17ROCPRIM_304000_NS6detail16transform_kernelINS1_24wrapped_transform_configINS0_14default_configElEElPlS6_NS0_8identityIlEEEEvT1_mT2_T3_ ; -- Begin function _ZN7rocprim17ROCPRIM_304000_NS6detail16transform_kernelINS1_24wrapped_transform_configINS0_14default_configElEElPlS6_NS0_8identityIlEEEEvT1_mT2_T3_
	.globl	_ZN7rocprim17ROCPRIM_304000_NS6detail16transform_kernelINS1_24wrapped_transform_configINS0_14default_configElEElPlS6_NS0_8identityIlEEEEvT1_mT2_T3_
	.p2align	8
	.type	_ZN7rocprim17ROCPRIM_304000_NS6detail16transform_kernelINS1_24wrapped_transform_configINS0_14default_configElEElPlS6_NS0_8identityIlEEEEvT1_mT2_T3_,@function
_ZN7rocprim17ROCPRIM_304000_NS6detail16transform_kernelINS1_24wrapped_transform_configINS0_14default_configElEElPlS6_NS0_8identityIlEEEEvT1_mT2_T3_: ; @_ZN7rocprim17ROCPRIM_304000_NS6detail16transform_kernelINS1_24wrapped_transform_configINS0_14default_configElEElPlS6_NS0_8identityIlEEEEvT1_mT2_T3_
; %bb.0:
	s_load_dword s7, s[4:5], 0x20
	s_load_dwordx4 s[0:3], s[4:5], 0x0
	s_lshl_b32 s8, s6, 9
	s_waitcnt lgkmcnt(0)
	s_add_i32 s7, s7, -1
	s_cmp_lg_u32 s6, s7
	s_cselect_b64 s[6:7], -1, 0
	s_sub_i32 s2, s2, s8
	v_cmp_gt_u32_e32 vcc, s2, v0
	s_or_b64 s[2:3], vcc, s[6:7]
	s_and_saveexec_b64 s[6:7], s[2:3]
	s_cbranch_execz .LBB31_2
; %bb.1:
	s_load_dwordx2 s[2:3], s[4:5], 0x10
	s_mov_b32 s9, 0
	s_lshl_b64 s[4:5], s[8:9], 3
	v_lshlrev_b32_e32 v2, 3, v0
	s_waitcnt lgkmcnt(0)
	s_add_u32 s2, s2, s4
	s_addc_u32 s3, s3, s5
	s_add_u32 s0, s0, s4
	s_addc_u32 s1, s1, s5
	global_load_dwordx2 v[0:1], v2, s[0:1]
	s_waitcnt vmcnt(0)
	global_store_dwordx2 v2, v[0:1], s[2:3]
.LBB31_2:
	s_endpgm
	.section	.rodata,"a",@progbits
	.p2align	6, 0x0
	.amdhsa_kernel _ZN7rocprim17ROCPRIM_304000_NS6detail16transform_kernelINS1_24wrapped_transform_configINS0_14default_configElEElPlS6_NS0_8identityIlEEEEvT1_mT2_T3_
		.amdhsa_group_segment_fixed_size 0
		.amdhsa_private_segment_fixed_size 0
		.amdhsa_kernarg_size 288
		.amdhsa_user_sgpr_count 6
		.amdhsa_user_sgpr_private_segment_buffer 1
		.amdhsa_user_sgpr_dispatch_ptr 0
		.amdhsa_user_sgpr_queue_ptr 0
		.amdhsa_user_sgpr_kernarg_segment_ptr 1
		.amdhsa_user_sgpr_dispatch_id 0
		.amdhsa_user_sgpr_flat_scratch_init 0
		.amdhsa_user_sgpr_private_segment_size 0
		.amdhsa_uses_dynamic_stack 0
		.amdhsa_system_sgpr_private_segment_wavefront_offset 0
		.amdhsa_system_sgpr_workgroup_id_x 1
		.amdhsa_system_sgpr_workgroup_id_y 0
		.amdhsa_system_sgpr_workgroup_id_z 0
		.amdhsa_system_sgpr_workgroup_info 0
		.amdhsa_system_vgpr_workitem_id 0
		.amdhsa_next_free_vgpr 3
		.amdhsa_next_free_sgpr 10
		.amdhsa_reserve_vcc 1
		.amdhsa_reserve_flat_scratch 0
		.amdhsa_float_round_mode_32 0
		.amdhsa_float_round_mode_16_64 0
		.amdhsa_float_denorm_mode_32 3
		.amdhsa_float_denorm_mode_16_64 3
		.amdhsa_dx10_clamp 1
		.amdhsa_ieee_mode 1
		.amdhsa_fp16_overflow 0
		.amdhsa_exception_fp_ieee_invalid_op 0
		.amdhsa_exception_fp_denorm_src 0
		.amdhsa_exception_fp_ieee_div_zero 0
		.amdhsa_exception_fp_ieee_overflow 0
		.amdhsa_exception_fp_ieee_underflow 0
		.amdhsa_exception_fp_ieee_inexact 0
		.amdhsa_exception_int_div_zero 0
	.end_amdhsa_kernel
	.section	.text._ZN7rocprim17ROCPRIM_304000_NS6detail16transform_kernelINS1_24wrapped_transform_configINS0_14default_configElEElPlS6_NS0_8identityIlEEEEvT1_mT2_T3_,"axG",@progbits,_ZN7rocprim17ROCPRIM_304000_NS6detail16transform_kernelINS1_24wrapped_transform_configINS0_14default_configElEElPlS6_NS0_8identityIlEEEEvT1_mT2_T3_,comdat
.Lfunc_end31:
	.size	_ZN7rocprim17ROCPRIM_304000_NS6detail16transform_kernelINS1_24wrapped_transform_configINS0_14default_configElEElPlS6_NS0_8identityIlEEEEvT1_mT2_T3_, .Lfunc_end31-_ZN7rocprim17ROCPRIM_304000_NS6detail16transform_kernelINS1_24wrapped_transform_configINS0_14default_configElEElPlS6_NS0_8identityIlEEEEvT1_mT2_T3_
                                        ; -- End function
	.set _ZN7rocprim17ROCPRIM_304000_NS6detail16transform_kernelINS1_24wrapped_transform_configINS0_14default_configElEElPlS6_NS0_8identityIlEEEEvT1_mT2_T3_.num_vgpr, 3
	.set _ZN7rocprim17ROCPRIM_304000_NS6detail16transform_kernelINS1_24wrapped_transform_configINS0_14default_configElEElPlS6_NS0_8identityIlEEEEvT1_mT2_T3_.num_agpr, 0
	.set _ZN7rocprim17ROCPRIM_304000_NS6detail16transform_kernelINS1_24wrapped_transform_configINS0_14default_configElEElPlS6_NS0_8identityIlEEEEvT1_mT2_T3_.numbered_sgpr, 10
	.set _ZN7rocprim17ROCPRIM_304000_NS6detail16transform_kernelINS1_24wrapped_transform_configINS0_14default_configElEElPlS6_NS0_8identityIlEEEEvT1_mT2_T3_.num_named_barrier, 0
	.set _ZN7rocprim17ROCPRIM_304000_NS6detail16transform_kernelINS1_24wrapped_transform_configINS0_14default_configElEElPlS6_NS0_8identityIlEEEEvT1_mT2_T3_.private_seg_size, 0
	.set _ZN7rocprim17ROCPRIM_304000_NS6detail16transform_kernelINS1_24wrapped_transform_configINS0_14default_configElEElPlS6_NS0_8identityIlEEEEvT1_mT2_T3_.uses_vcc, 1
	.set _ZN7rocprim17ROCPRIM_304000_NS6detail16transform_kernelINS1_24wrapped_transform_configINS0_14default_configElEElPlS6_NS0_8identityIlEEEEvT1_mT2_T3_.uses_flat_scratch, 0
	.set _ZN7rocprim17ROCPRIM_304000_NS6detail16transform_kernelINS1_24wrapped_transform_configINS0_14default_configElEElPlS6_NS0_8identityIlEEEEvT1_mT2_T3_.has_dyn_sized_stack, 0
	.set _ZN7rocprim17ROCPRIM_304000_NS6detail16transform_kernelINS1_24wrapped_transform_configINS0_14default_configElEElPlS6_NS0_8identityIlEEEEvT1_mT2_T3_.has_recursion, 0
	.set _ZN7rocprim17ROCPRIM_304000_NS6detail16transform_kernelINS1_24wrapped_transform_configINS0_14default_configElEElPlS6_NS0_8identityIlEEEEvT1_mT2_T3_.has_indirect_call, 0
	.section	.AMDGPU.csdata,"",@progbits
; Kernel info:
; codeLenInByte = 120
; TotalNumSgprs: 14
; NumVgprs: 3
; ScratchSize: 0
; MemoryBound: 0
; FloatMode: 240
; IeeeMode: 1
; LDSByteSize: 0 bytes/workgroup (compile time only)
; SGPRBlocks: 1
; VGPRBlocks: 0
; NumSGPRsForWavesPerEU: 14
; NumVGPRsForWavesPerEU: 3
; Occupancy: 10
; WaveLimiterHint : 0
; COMPUTE_PGM_RSRC2:SCRATCH_EN: 0
; COMPUTE_PGM_RSRC2:USER_SGPR: 6
; COMPUTE_PGM_RSRC2:TRAP_HANDLER: 0
; COMPUTE_PGM_RSRC2:TGID_X_EN: 1
; COMPUTE_PGM_RSRC2:TGID_Y_EN: 0
; COMPUTE_PGM_RSRC2:TGID_Z_EN: 0
; COMPUTE_PGM_RSRC2:TIDIG_COMP_CNT: 0
	.section	.text._ZN7rocprim17ROCPRIM_304000_NS6detail18single_scan_kernelILb0ENS1_19wrapped_scan_configINS0_14default_configElEEPKlPlSt10multipliesIlEllEEvT1_mT4_T2_T3_,"axG",@progbits,_ZN7rocprim17ROCPRIM_304000_NS6detail18single_scan_kernelILb0ENS1_19wrapped_scan_configINS0_14default_configElEEPKlPlSt10multipliesIlEllEEvT1_mT4_T2_T3_,comdat
	.protected	_ZN7rocprim17ROCPRIM_304000_NS6detail18single_scan_kernelILb0ENS1_19wrapped_scan_configINS0_14default_configElEEPKlPlSt10multipliesIlEllEEvT1_mT4_T2_T3_ ; -- Begin function _ZN7rocprim17ROCPRIM_304000_NS6detail18single_scan_kernelILb0ENS1_19wrapped_scan_configINS0_14default_configElEEPKlPlSt10multipliesIlEllEEvT1_mT4_T2_T3_
	.globl	_ZN7rocprim17ROCPRIM_304000_NS6detail18single_scan_kernelILb0ENS1_19wrapped_scan_configINS0_14default_configElEEPKlPlSt10multipliesIlEllEEvT1_mT4_T2_T3_
	.p2align	8
	.type	_ZN7rocprim17ROCPRIM_304000_NS6detail18single_scan_kernelILb0ENS1_19wrapped_scan_configINS0_14default_configElEEPKlPlSt10multipliesIlEllEEvT1_mT4_T2_T3_,@function
_ZN7rocprim17ROCPRIM_304000_NS6detail18single_scan_kernelILb0ENS1_19wrapped_scan_configINS0_14default_configElEEPKlPlSt10multipliesIlEllEEvT1_mT4_T2_T3_: ; @_ZN7rocprim17ROCPRIM_304000_NS6detail18single_scan_kernelILb0ENS1_19wrapped_scan_configINS0_14default_configElEEPKlPlSt10multipliesIlEllEEvT1_mT4_T2_T3_
; %bb.0:
	s_load_dwordx4 s[28:31], s[4:5], 0x0
	v_lshlrev_b32_e32 v59, 3, v0
	s_waitcnt lgkmcnt(0)
	s_load_dwordx2 s[34:35], s[28:29], 0x0
	v_mov_b32_e32 v1, s29
	v_add_co_u32_e32 v3, vcc, s28, v59
	v_addc_co_u32_e32 v4, vcc, 0, v1, vcc
	s_waitcnt lgkmcnt(0)
	v_mov_b32_e32 v1, s34
	v_cmp_gt_u32_e64 s[0:1], s30, v0
	v_mov_b32_e32 v2, s35
	s_and_saveexec_b64 s[2:3], s[0:1]
	s_cbranch_execz .LBB32_2
; %bb.1:
	global_load_dwordx2 v[1:2], v[3:4], off
.LBB32_2:
	s_or_b64 exec, exec, s[2:3]
	v_or_b32_e32 v5, 64, v0
	v_cmp_gt_u32_e64 s[2:3], s30, v5
	v_mov_b32_e32 v5, s34
	v_mov_b32_e32 v6, s35
	s_and_saveexec_b64 s[6:7], s[2:3]
	s_cbranch_execz .LBB32_4
; %bb.3:
	global_load_dwordx2 v[5:6], v[3:4], off offset:512
.LBB32_4:
	s_or_b64 exec, exec, s[6:7]
	v_or_b32_e32 v7, 0x80, v0
	v_cmp_gt_u32_e64 s[16:17], s30, v7
	v_mov_b32_e32 v7, s34
	v_mov_b32_e32 v8, s35
	s_and_saveexec_b64 s[6:7], s[16:17]
	s_cbranch_execz .LBB32_6
; %bb.5:
	global_load_dwordx2 v[7:8], v[3:4], off offset:1024
.LBB32_6:
	;; [unrolled: 10-line block ×7, first 2 shown]
	s_or_b64 exec, exec, s[18:19]
	v_or_b32_e32 v19, 0x200, v0
	v_cmp_gt_u32_e64 s[18:19], s30, v19
	v_mov_b32_e32 v19, s34
	v_mov_b32_e32 v20, s35
	s_and_saveexec_b64 s[20:21], s[18:19]
	s_cbranch_execz .LBB32_18
; %bb.17:
	v_add_co_u32_e32 v19, vcc, 0x1000, v3
	v_addc_co_u32_e32 v20, vcc, 0, v4, vcc
	global_load_dwordx2 v[19:20], v[19:20], off
.LBB32_18:
	s_or_b64 exec, exec, s[20:21]
	v_or_b32_e32 v21, 0x240, v0
	v_cmp_gt_u32_e64 s[20:21], s30, v21
	v_mov_b32_e32 v21, s34
	v_mov_b32_e32 v22, s35
	s_and_saveexec_b64 s[22:23], s[20:21]
	s_cbranch_execz .LBB32_20
; %bb.19:
	v_add_co_u32_e32 v21, vcc, 0x1000, v3
	v_addc_co_u32_e32 v22, vcc, 0, v4, vcc
	global_load_dwordx2 v[21:22], v[21:22], off offset:512
.LBB32_20:
	s_or_b64 exec, exec, s[22:23]
	v_or_b32_e32 v23, 0x280, v0
	v_cmp_gt_u32_e64 s[22:23], s30, v23
	v_mov_b32_e32 v23, s34
	v_mov_b32_e32 v24, s35
	s_and_saveexec_b64 s[24:25], s[22:23]
	s_cbranch_execz .LBB32_22
; %bb.21:
	v_add_co_u32_e32 v23, vcc, 0x1000, v3
	v_addc_co_u32_e32 v24, vcc, 0, v4, vcc
	global_load_dwordx2 v[23:24], v[23:24], off offset:1024
.LBB32_22:
	s_or_b64 exec, exec, s[24:25]
	v_or_b32_e32 v25, 0x2c0, v0
	v_cmp_gt_u32_e64 s[24:25], s30, v25
	v_mov_b32_e32 v25, s34
	v_mov_b32_e32 v26, s35
	s_and_saveexec_b64 s[26:27], s[24:25]
	s_cbranch_execz .LBB32_24
; %bb.23:
	v_add_co_u32_e32 v25, vcc, 0x1000, v3
	v_addc_co_u32_e32 v26, vcc, 0, v4, vcc
	global_load_dwordx2 v[25:26], v[25:26], off offset:1536
.LBB32_24:
	s_or_b64 exec, exec, s[26:27]
	v_or_b32_e32 v27, 0x300, v0
	v_cmp_gt_u32_e64 s[26:27], s30, v27
	v_mov_b32_e32 v27, s34
	v_mov_b32_e32 v28, s35
	s_and_saveexec_b64 s[28:29], s[26:27]
	s_cbranch_execz .LBB32_26
; %bb.25:
	v_add_co_u32_e32 v27, vcc, 0x1000, v3
	v_addc_co_u32_e32 v28, vcc, 0, v4, vcc
	global_load_dwordx2 v[27:28], v[27:28], off offset:2048
.LBB32_26:
	s_or_b64 exec, exec, s[28:29]
	v_or_b32_e32 v29, 0x340, v0
	v_cmp_gt_u32_e64 s[28:29], s30, v29
	v_mov_b32_e32 v29, s34
	v_mov_b32_e32 v30, s35
	s_and_saveexec_b64 s[30:31], s[28:29]
	s_cbranch_execz .LBB32_28
; %bb.27:
	v_add_co_u32_e32 v3, vcc, 0x1000, v3
	v_addc_co_u32_e32 v4, vcc, 0, v4, vcc
	global_load_dwordx2 v[29:30], v[3:4], off offset:2560
.LBB32_28:
	s_or_b64 exec, exec, s[30:31]
	s_movk_i32 s30, 0x68
	s_waitcnt vmcnt(0)
	ds_write2st64_b64 v59, v[1:2], v[5:6] offset1:1
	ds_write2st64_b64 v59, v[7:8], v[9:10] offset0:2 offset1:3
	ds_write2st64_b64 v59, v[11:12], v[13:14] offset0:4 offset1:5
	;; [unrolled: 1-line block ×6, first 2 shown]
	v_mad_u32_u24 v21, v0, s30, v59
	s_waitcnt lgkmcnt(0)
	; wave barrier
	ds_read_b128 v[1:4], v21
	ds_read_b128 v[41:44], v21 offset:16
	ds_read_b128 v[45:48], v21 offset:32
	;; [unrolled: 1-line block ×5, first 2 shown]
	s_waitcnt lgkmcnt(5)
	v_mul_lo_u32 v5, v4, v1
	v_mul_lo_u32 v6, v3, v2
	v_mad_u64_u32 v[53:54], s[30:31], v3, v1, 0
	v_add3_u32 v54, v54, v6, v5
	s_waitcnt lgkmcnt(4)
	v_mul_lo_u32 v7, v54, v41
	v_mul_lo_u32 v8, v53, v42
	v_mad_u64_u32 v[5:6], s[30:31], v53, v41, 0
	v_add3_u32 v6, v6, v8, v7
	v_mul_lo_u32 v9, v6, v43
	v_mul_lo_u32 v10, v5, v44
	v_mad_u64_u32 v[7:8], s[30:31], v5, v43, 0
	v_add3_u32 v8, v8, v10, v9
	s_waitcnt lgkmcnt(3)
	v_mul_lo_u32 v11, v8, v45
	v_mul_lo_u32 v12, v7, v46
	v_mad_u64_u32 v[9:10], s[30:31], v7, v45, 0
	v_add3_u32 v10, v10, v12, v11
	;; [unrolled: 9-line block ×4, first 2 shown]
	v_mul_lo_u32 v22, v18, v39
	v_mul_lo_u32 v23, v17, v40
	v_mad_u64_u32 v[19:20], s[30:31], v17, v39, 0
	v_add3_u32 v20, v20, v23, v22
	s_waitcnt lgkmcnt(0)
	v_mul_lo_u32 v31, v20, v25
	v_mul_lo_u32 v32, v19, v26
	v_mad_u64_u32 v[29:30], s[30:31], v19, v25, 0
	ds_read_b128 v[21:24], v21 offset:96
	s_waitcnt lgkmcnt(0)
	v_add3_u32 v30, v30, v32, v31
	v_mul_lo_u32 v49, v30, v27
	v_mul_lo_u32 v50, v29, v28
	v_mad_u64_u32 v[31:32], s[30:31], v29, v27, 0
	; wave barrier
	v_add3_u32 v32, v32, v50, v49
	v_mul_lo_u32 v51, v32, v21
	v_mul_lo_u32 v52, v31, v22
	v_mad_u64_u32 v[49:50], s[30:31], v31, v21, 0
	v_add3_u32 v50, v50, v52, v51
	v_mul_lo_u32 v55, v50, v23
	v_mul_lo_u32 v56, v49, v24
	v_mad_u64_u32 v[51:52], s[30:31], v49, v23, 0
	v_add3_u32 v52, v52, v56, v55
	v_mbcnt_lo_u32_b32 v55, -1, 0
	v_mbcnt_hi_u32_b32 v60, -1, v55
	v_and_b32_e32 v61, 15, v60
	v_mov_b32_e32 v58, v52
	v_mov_b32_dpp v62, v51 row_shr:1 row_mask:0xf bank_mask:0xf
	v_mov_b32_dpp v63, v52 row_shr:1 row_mask:0xf bank_mask:0xf
	v_cmp_ne_u32_e32 vcc, 0, v61
	v_mov_b32_e32 v56, v52
	v_mov_b32_e32 v55, v51
	;; [unrolled: 1-line block ×3, first 2 shown]
	s_and_saveexec_b64 s[30:31], vcc
	s_cbranch_execz .LBB32_30
; %bb.29:
	v_mul_lo_u32 v57, v63, v51
	v_mul_lo_u32 v58, v62, v52
	v_mad_u64_u32 v[55:56], s[34:35], v62, v51, 0
	v_add3_u32 v56, v56, v58, v57
	v_mov_b32_e32 v58, v56
	v_mov_b32_e32 v57, v55
.LBB32_30:
	s_or_b64 exec, exec, s[30:31]
	v_mov_b32_dpp v62, v55 row_shr:2 row_mask:0xf bank_mask:0xf
	v_mov_b32_dpp v63, v56 row_shr:2 row_mask:0xf bank_mask:0xf
	v_cmp_lt_u32_e32 vcc, 1, v61
	s_and_saveexec_b64 s[30:31], vcc
	s_cbranch_execz .LBB32_32
; %bb.31:
	v_mul_lo_u32 v63, v63, v57
	v_mul_lo_u32 v58, v62, v58
	v_mad_u64_u32 v[55:56], s[34:35], v62, v57, 0
	v_add3_u32 v56, v56, v58, v63
	v_mov_b32_e32 v58, v56
	v_mov_b32_e32 v57, v55
.LBB32_32:
	s_or_b64 exec, exec, s[30:31]
	v_mov_b32_dpp v62, v55 row_shr:4 row_mask:0xf bank_mask:0xf
	v_mov_b32_dpp v63, v56 row_shr:4 row_mask:0xf bank_mask:0xf
	v_cmp_lt_u32_e32 vcc, 3, v61
	;; [unrolled: 14-line block ×3, first 2 shown]
	s_and_saveexec_b64 s[30:31], vcc
	s_cbranch_execz .LBB32_36
; %bb.35:
	v_mul_lo_u32 v61, v63, v57
	v_mul_lo_u32 v58, v62, v58
	v_mad_u64_u32 v[55:56], s[34:35], v62, v57, 0
	v_add3_u32 v56, v56, v58, v61
	v_mov_b32_e32 v58, v56
	v_mov_b32_e32 v57, v55
.LBB32_36:
	s_or_b64 exec, exec, s[30:31]
	v_and_b32_e32 v63, 16, v60
	v_mov_b32_dpp v61, v55 row_bcast:15 row_mask:0xf bank_mask:0xf
	v_mov_b32_dpp v62, v56 row_bcast:15 row_mask:0xf bank_mask:0xf
	v_cmp_ne_u32_e32 vcc, 0, v63
	s_and_saveexec_b64 s[30:31], vcc
	s_cbranch_execz .LBB32_38
; %bb.37:
	v_mul_lo_u32 v62, v62, v57
	v_mul_lo_u32 v58, v61, v58
	v_mad_u64_u32 v[55:56], s[34:35], v61, v57, 0
	v_add3_u32 v56, v56, v58, v62
	v_mov_b32_e32 v58, v56
	v_mov_b32_e32 v57, v55
.LBB32_38:
	s_or_b64 exec, exec, s[30:31]
	v_mov_b32_dpp v61, v55 row_bcast:31 row_mask:0xf bank_mask:0xf
	v_mov_b32_dpp v62, v56 row_bcast:31 row_mask:0xf bank_mask:0xf
	v_cmp_lt_u32_e32 vcc, 31, v60
	s_and_saveexec_b64 s[30:31], vcc
	s_cbranch_execz .LBB32_40
; %bb.39:
	v_mul_lo_u32 v62, v62, v57
	v_mul_lo_u32 v58, v61, v58
	v_mad_u64_u32 v[55:56], s[34:35], v61, v57, 0
	v_add3_u32 v56, v56, v58, v62
	v_mov_b32_e32 v58, v56
	v_mov_b32_e32 v57, v55
.LBB32_40:
	s_or_b64 exec, exec, s[30:31]
	v_cmp_eq_u32_e32 vcc, 63, v0
	s_and_saveexec_b64 s[30:31], vcc
; %bb.41:
	v_mov_b32_e32 v61, 0
	ds_write_b64 v61, v[57:58]
; %bb.42:
	s_or_b64 exec, exec, s[30:31]
	v_add_u32_e32 v57, -1, v60
	v_and_b32_e32 v58, 64, v60
	v_cmp_lt_i32_e32 vcc, v57, v58
	v_cndmask_b32_e32 v57, v57, v60, vcc
	v_lshlrev_b32_e32 v58, 2, v57
	ds_bpermute_b32 v57, v58, v55
	ds_bpermute_b32 v56, v58, v56
	v_mul_u32_u24_e32 v55, 0x68, v0
	v_cmp_ne_u32_e32 vcc, 0, v0
	s_waitcnt lgkmcnt(0)
	; wave barrier
	s_and_saveexec_b64 s[30:31], vcc
	s_cbranch_execz .LBB32_44
; %bb.43:
	v_mul_lo_u32 v0, v56, v1
	v_mul_lo_u32 v5, v57, v2
	v_mad_u64_u32 v[1:2], s[34:35], v57, v1, 0
	v_add3_u32 v2, v2, v5, v0
	v_mul_lo_u32 v0, v1, v4
	v_mad_u64_u32 v[53:54], s[34:35], v1, v3, 0
	v_mul_lo_u32 v3, v2, v3
	v_mad_u64_u32 v[5:6], s[34:35], v53, v41, 0
	v_add3_u32 v54, v54, v0, v3
	v_mul_lo_u32 v0, v53, v42
	v_mul_lo_u32 v3, v54, v41
	v_mad_u64_u32 v[7:8], s[34:35], v5, v43, 0
	v_add3_u32 v6, v6, v0, v3
	v_mul_lo_u32 v0, v5, v44
	;; [unrolled: 4-line block ×12, first 2 shown]
	v_mul_lo_u32 v3, v49, v24
	v_add3_u32 v52, v52, v3, v0
.LBB32_44:
	s_or_b64 exec, exec, s[30:31]
	v_add_u32_e32 v0, v59, v55
	v_mov_b32_e32 v3, v53
	v_mov_b32_e32 v4, v54
	; wave barrier
	ds_write_b128 v0, v[1:4]
	ds_write_b128 v0, v[5:8] offset:16
	ds_write_b128 v0, v[9:12] offset:32
	;; [unrolled: 1-line block ×6, first 2 shown]
	s_waitcnt lgkmcnt(0)
	; wave barrier
	ds_read2st64_b64 v[20:23], v59 offset0:1 offset1:2
	ds_read2st64_b64 v[16:19], v59 offset0:3 offset1:4
	;; [unrolled: 1-line block ×6, first 2 shown]
	ds_read_b64 v[24:25], v59 offset:6656
	s_load_dwordx2 s[4:5], s[4:5], 0x18
	s_waitcnt lgkmcnt(0)
	v_mov_b32_e32 v27, s5
	v_add_co_u32_e32 v26, vcc, s4, v59
	v_addc_co_u32_e32 v27, vcc, 0, v27, vcc
	s_and_saveexec_b64 s[4:5], s[0:1]
	s_cbranch_execnz .LBB32_59
; %bb.45:
	s_or_b64 exec, exec, s[4:5]
	s_and_saveexec_b64 s[0:1], s[2:3]
	s_cbranch_execnz .LBB32_60
.LBB32_46:
	s_or_b64 exec, exec, s[0:1]
	s_and_saveexec_b64 s[0:1], s[16:17]
	s_cbranch_execnz .LBB32_61
.LBB32_47:
	s_or_b64 exec, exec, s[0:1]
	s_and_saveexec_b64 s[0:1], s[6:7]
	s_cbranch_execnz .LBB32_62
.LBB32_48:
	s_or_b64 exec, exec, s[0:1]
	s_and_saveexec_b64 s[0:1], s[8:9]
	s_cbranch_execnz .LBB32_63
.LBB32_49:
	s_or_b64 exec, exec, s[0:1]
	s_and_saveexec_b64 s[0:1], s[10:11]
	s_cbranch_execnz .LBB32_64
.LBB32_50:
	s_or_b64 exec, exec, s[0:1]
	s_and_saveexec_b64 s[0:1], s[12:13]
	s_cbranch_execnz .LBB32_65
.LBB32_51:
	s_or_b64 exec, exec, s[0:1]
	s_and_saveexec_b64 s[0:1], s[14:15]
	s_cbranch_execnz .LBB32_66
.LBB32_52:
	s_or_b64 exec, exec, s[0:1]
	s_and_saveexec_b64 s[0:1], s[18:19]
	s_cbranch_execnz .LBB32_67
.LBB32_53:
	s_or_b64 exec, exec, s[0:1]
	s_and_saveexec_b64 s[0:1], s[20:21]
	s_cbranch_execnz .LBB32_68
.LBB32_54:
	s_or_b64 exec, exec, s[0:1]
	s_and_saveexec_b64 s[0:1], s[22:23]
	s_cbranch_execnz .LBB32_69
.LBB32_55:
	s_or_b64 exec, exec, s[0:1]
	s_and_saveexec_b64 s[0:1], s[24:25]
	s_cbranch_execnz .LBB32_70
.LBB32_56:
	s_or_b64 exec, exec, s[0:1]
	s_and_saveexec_b64 s[0:1], s[26:27]
	s_cbranch_execnz .LBB32_71
.LBB32_57:
	s_or_b64 exec, exec, s[0:1]
	s_and_saveexec_b64 s[0:1], s[28:29]
	s_cbranch_execnz .LBB32_72
.LBB32_58:
	s_endpgm
.LBB32_59:
	ds_read_b64 v[28:29], v59
	s_waitcnt lgkmcnt(0)
	global_store_dwordx2 v[26:27], v[28:29], off
	s_or_b64 exec, exec, s[4:5]
	s_and_saveexec_b64 s[0:1], s[2:3]
	s_cbranch_execz .LBB32_46
.LBB32_60:
	global_store_dwordx2 v[26:27], v[20:21], off offset:512
	s_or_b64 exec, exec, s[0:1]
	s_and_saveexec_b64 s[0:1], s[16:17]
	s_cbranch_execz .LBB32_47
.LBB32_61:
	global_store_dwordx2 v[26:27], v[22:23], off offset:1024
	s_or_b64 exec, exec, s[0:1]
	s_and_saveexec_b64 s[0:1], s[6:7]
	s_cbranch_execz .LBB32_48
.LBB32_62:
	global_store_dwordx2 v[26:27], v[16:17], off offset:1536
	s_or_b64 exec, exec, s[0:1]
	s_and_saveexec_b64 s[0:1], s[8:9]
	s_cbranch_execz .LBB32_49
.LBB32_63:
	global_store_dwordx2 v[26:27], v[18:19], off offset:2048
	s_or_b64 exec, exec, s[0:1]
	s_and_saveexec_b64 s[0:1], s[10:11]
	s_cbranch_execz .LBB32_50
.LBB32_64:
	global_store_dwordx2 v[26:27], v[12:13], off offset:2560
	s_or_b64 exec, exec, s[0:1]
	s_and_saveexec_b64 s[0:1], s[12:13]
	s_cbranch_execz .LBB32_51
.LBB32_65:
	global_store_dwordx2 v[26:27], v[14:15], off offset:3072
	s_or_b64 exec, exec, s[0:1]
	s_and_saveexec_b64 s[0:1], s[14:15]
	s_cbranch_execz .LBB32_52
.LBB32_66:
	global_store_dwordx2 v[26:27], v[8:9], off offset:3584
	s_or_b64 exec, exec, s[0:1]
	s_and_saveexec_b64 s[0:1], s[18:19]
	s_cbranch_execz .LBB32_53
.LBB32_67:
	v_add_co_u32_e32 v8, vcc, 0x1000, v26
	v_addc_co_u32_e32 v9, vcc, 0, v27, vcc
	global_store_dwordx2 v[8:9], v[10:11], off
	s_or_b64 exec, exec, s[0:1]
	s_and_saveexec_b64 s[0:1], s[20:21]
	s_cbranch_execz .LBB32_54
.LBB32_68:
	v_add_co_u32_e32 v8, vcc, 0x1000, v26
	v_addc_co_u32_e32 v9, vcc, 0, v27, vcc
	global_store_dwordx2 v[8:9], v[4:5], off offset:512
	s_or_b64 exec, exec, s[0:1]
	s_and_saveexec_b64 s[0:1], s[22:23]
	s_cbranch_execz .LBB32_55
.LBB32_69:
	v_add_co_u32_e32 v4, vcc, 0x1000, v26
	v_addc_co_u32_e32 v5, vcc, 0, v27, vcc
	global_store_dwordx2 v[4:5], v[6:7], off offset:1024
	s_or_b64 exec, exec, s[0:1]
	s_and_saveexec_b64 s[0:1], s[24:25]
	s_cbranch_execz .LBB32_56
.LBB32_70:
	v_add_co_u32_e32 v4, vcc, 0x1000, v26
	v_addc_co_u32_e32 v5, vcc, 0, v27, vcc
	global_store_dwordx2 v[4:5], v[0:1], off offset:1536
	s_or_b64 exec, exec, s[0:1]
	s_and_saveexec_b64 s[0:1], s[26:27]
	s_cbranch_execz .LBB32_57
.LBB32_71:
	v_add_co_u32_e32 v0, vcc, 0x1000, v26
	v_addc_co_u32_e32 v1, vcc, 0, v27, vcc
	global_store_dwordx2 v[0:1], v[2:3], off offset:2048
	s_or_b64 exec, exec, s[0:1]
	s_and_saveexec_b64 s[0:1], s[28:29]
	s_cbranch_execz .LBB32_58
.LBB32_72:
	v_add_co_u32_e32 v0, vcc, 0x1000, v26
	v_addc_co_u32_e32 v1, vcc, 0, v27, vcc
	global_store_dwordx2 v[0:1], v[24:25], off offset:2560
	s_endpgm
	.section	.rodata,"a",@progbits
	.p2align	6, 0x0
	.amdhsa_kernel _ZN7rocprim17ROCPRIM_304000_NS6detail18single_scan_kernelILb0ENS1_19wrapped_scan_configINS0_14default_configElEEPKlPlSt10multipliesIlEllEEvT1_mT4_T2_T3_
		.amdhsa_group_segment_fixed_size 7168
		.amdhsa_private_segment_fixed_size 0
		.amdhsa_kernarg_size 36
		.amdhsa_user_sgpr_count 6
		.amdhsa_user_sgpr_private_segment_buffer 1
		.amdhsa_user_sgpr_dispatch_ptr 0
		.amdhsa_user_sgpr_queue_ptr 0
		.amdhsa_user_sgpr_kernarg_segment_ptr 1
		.amdhsa_user_sgpr_dispatch_id 0
		.amdhsa_user_sgpr_flat_scratch_init 0
		.amdhsa_user_sgpr_private_segment_size 0
		.amdhsa_uses_dynamic_stack 0
		.amdhsa_system_sgpr_private_segment_wavefront_offset 0
		.amdhsa_system_sgpr_workgroup_id_x 1
		.amdhsa_system_sgpr_workgroup_id_y 0
		.amdhsa_system_sgpr_workgroup_id_z 0
		.amdhsa_system_sgpr_workgroup_info 0
		.amdhsa_system_vgpr_workitem_id 0
		.amdhsa_next_free_vgpr 65
		.amdhsa_next_free_sgpr 98
		.amdhsa_reserve_vcc 1
		.amdhsa_reserve_flat_scratch 0
		.amdhsa_float_round_mode_32 0
		.amdhsa_float_round_mode_16_64 0
		.amdhsa_float_denorm_mode_32 3
		.amdhsa_float_denorm_mode_16_64 3
		.amdhsa_dx10_clamp 1
		.amdhsa_ieee_mode 1
		.amdhsa_fp16_overflow 0
		.amdhsa_exception_fp_ieee_invalid_op 0
		.amdhsa_exception_fp_denorm_src 0
		.amdhsa_exception_fp_ieee_div_zero 0
		.amdhsa_exception_fp_ieee_overflow 0
		.amdhsa_exception_fp_ieee_underflow 0
		.amdhsa_exception_fp_ieee_inexact 0
		.amdhsa_exception_int_div_zero 0
	.end_amdhsa_kernel
	.section	.text._ZN7rocprim17ROCPRIM_304000_NS6detail18single_scan_kernelILb0ENS1_19wrapped_scan_configINS0_14default_configElEEPKlPlSt10multipliesIlEllEEvT1_mT4_T2_T3_,"axG",@progbits,_ZN7rocprim17ROCPRIM_304000_NS6detail18single_scan_kernelILb0ENS1_19wrapped_scan_configINS0_14default_configElEEPKlPlSt10multipliesIlEllEEvT1_mT4_T2_T3_,comdat
.Lfunc_end32:
	.size	_ZN7rocprim17ROCPRIM_304000_NS6detail18single_scan_kernelILb0ENS1_19wrapped_scan_configINS0_14default_configElEEPKlPlSt10multipliesIlEllEEvT1_mT4_T2_T3_, .Lfunc_end32-_ZN7rocprim17ROCPRIM_304000_NS6detail18single_scan_kernelILb0ENS1_19wrapped_scan_configINS0_14default_configElEEPKlPlSt10multipliesIlEllEEvT1_mT4_T2_T3_
                                        ; -- End function
	.set _ZN7rocprim17ROCPRIM_304000_NS6detail18single_scan_kernelILb0ENS1_19wrapped_scan_configINS0_14default_configElEEPKlPlSt10multipliesIlEllEEvT1_mT4_T2_T3_.num_vgpr, 64
	.set _ZN7rocprim17ROCPRIM_304000_NS6detail18single_scan_kernelILb0ENS1_19wrapped_scan_configINS0_14default_configElEEPKlPlSt10multipliesIlEllEEvT1_mT4_T2_T3_.num_agpr, 0
	.set _ZN7rocprim17ROCPRIM_304000_NS6detail18single_scan_kernelILb0ENS1_19wrapped_scan_configINS0_14default_configElEEPKlPlSt10multipliesIlEllEEvT1_mT4_T2_T3_.numbered_sgpr, 36
	.set _ZN7rocprim17ROCPRIM_304000_NS6detail18single_scan_kernelILb0ENS1_19wrapped_scan_configINS0_14default_configElEEPKlPlSt10multipliesIlEllEEvT1_mT4_T2_T3_.num_named_barrier, 0
	.set _ZN7rocprim17ROCPRIM_304000_NS6detail18single_scan_kernelILb0ENS1_19wrapped_scan_configINS0_14default_configElEEPKlPlSt10multipliesIlEllEEvT1_mT4_T2_T3_.private_seg_size, 0
	.set _ZN7rocprim17ROCPRIM_304000_NS6detail18single_scan_kernelILb0ENS1_19wrapped_scan_configINS0_14default_configElEEPKlPlSt10multipliesIlEllEEvT1_mT4_T2_T3_.uses_vcc, 1
	.set _ZN7rocprim17ROCPRIM_304000_NS6detail18single_scan_kernelILb0ENS1_19wrapped_scan_configINS0_14default_configElEEPKlPlSt10multipliesIlEllEEvT1_mT4_T2_T3_.uses_flat_scratch, 0
	.set _ZN7rocprim17ROCPRIM_304000_NS6detail18single_scan_kernelILb0ENS1_19wrapped_scan_configINS0_14default_configElEEPKlPlSt10multipliesIlEllEEvT1_mT4_T2_T3_.has_dyn_sized_stack, 0
	.set _ZN7rocprim17ROCPRIM_304000_NS6detail18single_scan_kernelILb0ENS1_19wrapped_scan_configINS0_14default_configElEEPKlPlSt10multipliesIlEllEEvT1_mT4_T2_T3_.has_recursion, 0
	.set _ZN7rocprim17ROCPRIM_304000_NS6detail18single_scan_kernelILb0ENS1_19wrapped_scan_configINS0_14default_configElEEPKlPlSt10multipliesIlEllEEvT1_mT4_T2_T3_.has_indirect_call, 0
	.section	.AMDGPU.csdata,"",@progbits
; Kernel info:
; codeLenInByte = 2976
; TotalNumSgprs: 40
; NumVgprs: 64
; ScratchSize: 0
; MemoryBound: 0
; FloatMode: 240
; IeeeMode: 1
; LDSByteSize: 7168 bytes/workgroup (compile time only)
; SGPRBlocks: 12
; VGPRBlocks: 16
; NumSGPRsForWavesPerEU: 102
; NumVGPRsForWavesPerEU: 65
; Occupancy: 3
; WaveLimiterHint : 0
; COMPUTE_PGM_RSRC2:SCRATCH_EN: 0
; COMPUTE_PGM_RSRC2:USER_SGPR: 6
; COMPUTE_PGM_RSRC2:TRAP_HANDLER: 0
; COMPUTE_PGM_RSRC2:TGID_X_EN: 1
; COMPUTE_PGM_RSRC2:TGID_Y_EN: 0
; COMPUTE_PGM_RSRC2:TGID_Z_EN: 0
; COMPUTE_PGM_RSRC2:TIDIG_COMP_CNT: 0
	.section	.text._ZN2at6native32tensor_kernel_scan_innermost_dimIlSt10multipliesIlEEEvPT_PKS4_jjjS4_T0_,"axG",@progbits,_ZN2at6native32tensor_kernel_scan_innermost_dimIlSt10multipliesIlEEEvPT_PKS4_jjjS4_T0_,comdat
	.protected	_ZN2at6native32tensor_kernel_scan_innermost_dimIlSt10multipliesIlEEEvPT_PKS4_jjjS4_T0_ ; -- Begin function _ZN2at6native32tensor_kernel_scan_innermost_dimIlSt10multipliesIlEEEvPT_PKS4_jjjS4_T0_
	.globl	_ZN2at6native32tensor_kernel_scan_innermost_dimIlSt10multipliesIlEEEvPT_PKS4_jjjS4_T0_
	.p2align	8
	.type	_ZN2at6native32tensor_kernel_scan_innermost_dimIlSt10multipliesIlEEEvPT_PKS4_jjjS4_T0_,@function
_ZN2at6native32tensor_kernel_scan_innermost_dimIlSt10multipliesIlEEEvPT_PKS4_jjjS4_T0_: ; @_ZN2at6native32tensor_kernel_scan_innermost_dimIlSt10multipliesIlEEEvPT_PKS4_jjjS4_T0_
; %bb.0:
	s_load_dwordx8 s[12:19], s[4:5], 0x0
	v_mov_b32_e32 v2, v1
	s_load_dwordx2 s[20:21], s[4:5], 0x20
	s_waitcnt lgkmcnt(0)
	s_lshl_b32 s7, 2, s18
	v_mul_lo_u32 v1, s7, v2
	s_mul_hi_u32 s0, s16, s17
	s_cmp_lg_u32 s0, 0
	s_mov_b64 s[0:1], -1
	v_lshl_add_u32 v11, v1, 3, 0
	s_cbranch_scc1 .LBB33_26
; %bb.1:
	s_load_dword s2, s[4:5], 0x3c
	s_add_u32 s0, s4, 48
	s_addc_u32 s1, s5, 0
	s_waitcnt lgkmcnt(0)
	s_lshr_b32 s2, s2, 16
	s_mul_i32 s19, s6, s2
	s_cmp_ge_u32 s19, s16
	s_cbranch_scc1 .LBB33_25
; %bb.2:
	s_load_dword s27, s[0:1], 0x0
	s_lshl_b32 s26, 1, s18
	s_cmp_lg_u32 s17, 0
	s_cselect_b64 s[8:9], -1, 0
	v_lshl_add_u32 v1, v0, 3, v11
	s_lshl_b32 s3, s7, 3
	v_cndmask_b32_e64 v3, 0, 1, s[8:9]
	v_lshl_add_u32 v12, s26, 3, v1
	v_cmp_eq_u32_e64 s[0:1], 0, v0
	v_add3_u32 v13, v11, s3, -8
	s_waitcnt lgkmcnt(0)
	s_mul_i32 s27, s27, s2
	s_add_i32 s28, s18, 1
	v_cmp_ne_u32_e64 s[2:3], 1, v3
	v_mov_b32_e32 v4, 0
	s_branch .LBB33_4
.LBB33_3:                               ;   in Loop: Header=BB33_4 Depth=1
	s_add_i32 s19, s19, s27
	s_cmp_ge_u32 s19, s16
	s_cbranch_scc1 .LBB33_25
.LBB33_4:                               ; =>This Loop Header: Depth=1
                                        ;     Child Loop BB33_7 Depth 2
                                        ;       Child Loop BB33_16 Depth 3
	s_and_b64 vcc, exec, s[2:3]
	s_cbranch_vccnz .LBB33_3
; %bb.5:                                ;   in Loop: Header=BB33_4 Depth=1
	v_add_u32_e32 v7, s19, v2
	v_mul_lo_u32 v3, v7, s17
	v_mov_b32_e32 v8, s15
	v_cmp_le_u32_e64 s[8:9], s16, v7
	s_mov_b32 s29, 0
	v_lshlrev_b64 v[5:6], 3, v[3:4]
	v_mov_b32_e32 v3, s13
	v_add_co_u32_e32 v14, vcc, s14, v5
	v_addc_co_u32_e32 v15, vcc, v8, v6, vcc
	v_add_co_u32_e32 v16, vcc, s12, v5
	v_addc_co_u32_e32 v17, vcc, v3, v6, vcc
	v_cmp_gt_u32_e32 vcc, s16, v7
	v_mov_b32_e32 v7, s20
	v_mov_b32_e32 v8, s21
	s_branch .LBB33_7
.LBB33_6:                               ;   in Loop: Header=BB33_7 Depth=2
	s_or_b64 exec, exec, s[22:23]
	ds_read_b64 v[7:8], v13
	s_add_i32 s29, s29, s7
	s_cmp_ge_u32 s29, s17
	s_waitcnt vmcnt(0) lgkmcnt(0)
	s_barrier
	s_cbranch_scc1 .LBB33_3
.LBB33_7:                               ;   Parent Loop BB33_4 Depth=1
                                        ; =>  This Loop Header: Depth=2
                                        ;       Child Loop BB33_16 Depth 3
	v_add_u32_e32 v3, s29, v0
	v_add_u32_e32 v5, s26, v3
	s_and_saveexec_b64 s[22:23], vcc
	s_cbranch_execz .LBB33_14
; %bb.8:                                ;   in Loop: Header=BB33_7 Depth=2
	v_mov_b32_e32 v9, s20
	v_cmp_gt_u32_e64 s[10:11], s17, v3
	v_mov_b32_e32 v10, s21
	s_and_saveexec_b64 s[24:25], s[10:11]
	s_cbranch_execz .LBB33_10
; %bb.9:                                ;   in Loop: Header=BB33_7 Depth=2
	v_lshlrev_b64 v[9:10], 3, v[3:4]
	v_add_co_u32_e64 v9, s[10:11], v14, v9
	v_addc_co_u32_e64 v10, s[10:11], v15, v10, s[10:11]
	global_load_dwordx2 v[9:10], v[9:10], off
.LBB33_10:                              ;   in Loop: Header=BB33_7 Depth=2
	s_or_b64 exec, exec, s[24:25]
	s_waitcnt vmcnt(0)
	ds_write_b64 v1, v[9:10]
	v_mov_b32_e32 v9, s20
	v_cmp_gt_u32_e64 s[10:11], s17, v5
	v_mov_b32_e32 v10, s21
	s_and_saveexec_b64 s[24:25], s[10:11]
	s_cbranch_execz .LBB33_12
; %bb.11:                               ;   in Loop: Header=BB33_7 Depth=2
	v_mov_b32_e32 v6, v4
	v_lshlrev_b64 v[9:10], 3, v[5:6]
	v_add_co_u32_e64 v9, s[10:11], v14, v9
	v_addc_co_u32_e64 v10, s[10:11], v15, v10, s[10:11]
	global_load_dwordx2 v[9:10], v[9:10], off
.LBB33_12:                              ;   in Loop: Header=BB33_7 Depth=2
	s_or_b64 exec, exec, s[24:25]
	s_waitcnt vmcnt(0)
	ds_write_b64 v12, v[9:10]
	s_and_b64 exec, exec, s[0:1]
	s_cbranch_execz .LBB33_14
; %bb.13:                               ;   in Loop: Header=BB33_7 Depth=2
	ds_read_b64 v[9:10], v11
	s_waitcnt lgkmcnt(0)
	v_mul_lo_u32 v10, v10, v7
	v_mul_lo_u32 v8, v9, v8
	v_mad_u64_u32 v[6:7], s[10:11], v9, v7, 0
	v_add3_u32 v7, v7, v8, v10
	ds_write_b64 v11, v[6:7]
.LBB33_14:                              ;   in Loop: Header=BB33_7 Depth=2
	s_or_b64 exec, exec, s[22:23]
	v_mov_b32_e32 v6, 0
	s_mov_b64 s[22:23], 0
	s_waitcnt lgkmcnt(0)
	s_barrier
	s_branch .LBB33_16
.LBB33_15:                              ;   in Loop: Header=BB33_16 Depth=3
	s_or_b64 exec, exec, s[10:11]
	v_cmp_eq_u32_e64 s[10:11], s28, v6
	s_or_b64 s[22:23], s[10:11], s[22:23]
	s_waitcnt lgkmcnt(0)
	s_barrier
	s_andn2_b64 exec, exec, s[22:23]
	s_cbranch_execz .LBB33_20
.LBB33_16:                              ;   Parent Loop BB33_4 Depth=1
                                        ;     Parent Loop BB33_7 Depth=2
                                        ; =>    This Inner Loop Header: Depth=3
	v_add_u32_e32 v7, 1, v6
	s_and_saveexec_b64 s[10:11], s[8:9]
	s_xor_b64 s[10:11], exec, s[10:11]
; %bb.17:                               ;   in Loop: Header=BB33_16 Depth=3
	v_add_u32_e32 v6, 1, v6
                                        ; implicit-def: $vgpr7
; %bb.18:                               ;   in Loop: Header=BB33_16 Depth=3
	s_andn2_saveexec_b64 s[10:11], s[10:11]
	s_cbranch_execz .LBB33_15
; %bb.19:                               ;   in Loop: Header=BB33_16 Depth=3
	v_lshlrev_b32_e64 v8, v6, 1
	v_lshrrev_b32_e32 v9, v6, v0
	v_lshl_or_b32 v8, v9, v7, v8
	v_bfm_b32 v6, v6, 0
	v_and_b32_e32 v6, v6, v0
	v_lshl_add_u32 v8, v8, 3, v11
	v_lshl_add_u32 v6, v6, 3, v8
	v_add_u32_e32 v10, -8, v8
	ds_read_b64 v[8:9], v6
	ds_read_b64 v[18:19], v10
	s_waitcnt lgkmcnt(0)
	v_mul_lo_u32 v10, v19, v8
	v_mul_lo_u32 v19, v18, v9
	v_mad_u64_u32 v[8:9], s[24:25], v18, v8, 0
	v_add3_u32 v9, v9, v19, v10
	ds_write_b64 v6, v[8:9]
	v_mov_b32_e32 v6, v7
	s_branch .LBB33_15
.LBB33_20:                              ;   in Loop: Header=BB33_7 Depth=2
	s_or_b64 exec, exec, s[22:23]
	s_and_saveexec_b64 s[22:23], vcc
	s_cbranch_execz .LBB33_6
; %bb.21:                               ;   in Loop: Header=BB33_7 Depth=2
	v_cmp_gt_u32_e64 s[10:11], s17, v3
	s_and_saveexec_b64 s[24:25], s[10:11]
	s_cbranch_execz .LBB33_23
; %bb.22:                               ;   in Loop: Header=BB33_7 Depth=2
	ds_read_b64 v[8:9], v1
	v_lshlrev_b64 v[6:7], 3, v[3:4]
	v_add_co_u32_e64 v6, s[10:11], v16, v6
	v_addc_co_u32_e64 v7, s[10:11], v17, v7, s[10:11]
	s_waitcnt lgkmcnt(0)
	global_store_dwordx2 v[6:7], v[8:9], off
.LBB33_23:                              ;   in Loop: Header=BB33_7 Depth=2
	s_or_b64 exec, exec, s[24:25]
	v_cmp_gt_u32_e64 s[10:11], s17, v5
	s_and_b64 exec, exec, s[10:11]
	s_cbranch_execz .LBB33_6
; %bb.24:                               ;   in Loop: Header=BB33_7 Depth=2
	v_mov_b32_e32 v6, v4
	ds_read_b64 v[7:8], v12
	v_lshlrev_b64 v[5:6], 3, v[5:6]
	v_add_co_u32_e64 v5, s[10:11], v16, v5
	v_addc_co_u32_e64 v6, s[10:11], v17, v6, s[10:11]
	s_waitcnt lgkmcnt(0)
	global_store_dwordx2 v[5:6], v[7:8], off
	s_branch .LBB33_6
.LBB33_25:
	s_mov_b64 s[0:1], 0
.LBB33_26:
	s_andn2_b64 vcc, exec, s[0:1]
	s_cbranch_vccnz .LBB33_53
; %bb.27:
	s_load_dword s2, s[4:5], 0x3c
	s_add_u32 s0, s4, 48
	s_mov_b32 s8, s16
	s_mov_b32 s9, 0
	s_addc_u32 s1, s5, 0
	s_waitcnt lgkmcnt(0)
	s_lshr_b32 s2, s2, 16
	v_mov_b32_e32 v3, s8
	s_mul_hi_u32 s11, s2, s6
	s_mul_i32 s10, s2, s6
	v_mov_b32_e32 v4, s9
	v_cmp_ge_u64_e32 vcc, s[10:11], v[3:4]
	s_cbranch_vccnz .LBB33_53
; %bb.28:
	s_lshl_b32 s22, 1, s18
	s_load_dword s5, s[0:1], 0x0
	s_and_b32 s4, 0xffff, s2
	s_ashr_i32 s23, s22, 31
	s_cmp_lg_u32 s17, 0
	s_mov_b32 s24, s17
	s_cselect_b64 s[2:3], -1, 0
	s_lshl_b64 s[16:17], s[22:23], 1
	v_lshl_add_u32 v12, v0, 3, v11
	s_lshl_b32 s6, s16, 3
	v_cndmask_b32_e64 v3, 0, 1, s[2:3]
	v_mov_b32_e32 v1, 0
	s_mov_b32 s25, s9
	v_lshl_add_u32 v13, s22, 3, v12
	v_cmp_eq_u32_e64 s[0:1], 0, v0
	v_add3_u32 v14, v11, s6, -8
	s_waitcnt lgkmcnt(0)
	s_mul_i32 s33, s5, s4
	s_add_i32 s34, s18, 1
	v_cmp_ne_u32_e64 s[2:3], 1, v3
	s_branch .LBB33_30
.LBB33_29:                              ;   in Loop: Header=BB33_30 Depth=1
	s_add_u32 s10, s10, s33
	v_mov_b32_e32 v3, s8
	s_addc_u32 s11, s11, 0
	v_mov_b32_e32 v4, s9
	v_cmp_ge_u64_e32 vcc, s[10:11], v[3:4]
	s_cbranch_vccnz .LBB33_53
.LBB33_30:                              ; =>This Loop Header: Depth=1
                                        ;     Child Loop BB33_33 Depth 2
                                        ;       Child Loop BB33_43 Depth 3
	s_and_b64 vcc, exec, s[2:3]
	s_cbranch_vccnz .LBB33_29
; %bb.31:                               ;   in Loop: Header=BB33_30 Depth=1
	v_add_co_u32_e32 v3, vcc, s10, v2
	v_mad_u64_u32 v[5:6], s[4:5], v3, s24, 0
	v_mov_b32_e32 v4, s11
	v_addc_co_u32_e32 v4, vcc, 0, v4, vcc
	v_mad_u64_u32 v[6:7], s[4:5], v4, s24, v[6:7]
	v_mov_b32_e32 v7, s15
	v_cmp_gt_u64_e64 s[4:5], s[8:9], v[3:4]
	v_lshlrev_b64 v[5:6], 3, v[5:6]
	v_cmp_le_u64_e64 s[6:7], s[8:9], v[3:4]
	v_add_co_u32_e32 v15, vcc, s14, v5
	v_addc_co_u32_e32 v16, vcc, v7, v6, vcc
	v_mov_b32_e32 v7, s13
	v_add_co_u32_e32 v17, vcc, s12, v5
	v_addc_co_u32_e32 v18, vcc, v7, v6, vcc
	v_mov_b32_e32 v7, s20
	s_mov_b64 s[18:19], 0
	v_mov_b32_e32 v8, s21
	s_branch .LBB33_33
.LBB33_32:                              ;   in Loop: Header=BB33_33 Depth=2
	s_or_b64 exec, exec, s[26:27]
	ds_read_b64 v[7:8], v14
	s_add_u32 s18, s18, s16
	v_mov_b32_e32 v3, s24
	s_addc_u32 s19, s19, s17
	v_mov_b32_e32 v4, s25
	v_cmp_ge_u64_e32 vcc, s[18:19], v[3:4]
	s_waitcnt lgkmcnt(0)
	s_waitcnt vmcnt(0)
	s_barrier
	s_cbranch_vccnz .LBB33_29
.LBB33_33:                              ;   Parent Loop BB33_30 Depth=1
                                        ; =>  This Loop Header: Depth=2
                                        ;       Child Loop BB33_43 Depth 3
	v_mov_b32_e32 v3, s19
	v_add_co_u32_e32 v5, vcc, s18, v0
	v_addc_co_u32_e32 v6, vcc, 0, v3, vcc
	v_mov_b32_e32 v4, s23
	v_add_co_u32_e32 v3, vcc, s22, v5
	v_addc_co_u32_e32 v4, vcc, v6, v4, vcc
	s_and_saveexec_b64 s[26:27], s[4:5]
	s_cbranch_execz .LBB33_40
; %bb.34:                               ;   in Loop: Header=BB33_33 Depth=2
	v_cmp_gt_u64_e32 vcc, s[24:25], v[5:6]
	v_mov_b32_e32 v9, s20
	v_mov_b32_e32 v10, s21
	s_and_saveexec_b64 s[28:29], vcc
	s_cbranch_execz .LBB33_36
; %bb.35:                               ;   in Loop: Header=BB33_33 Depth=2
	v_lshlrev_b64 v[9:10], 3, v[5:6]
	v_add_co_u32_e32 v9, vcc, v15, v9
	v_addc_co_u32_e32 v10, vcc, v16, v10, vcc
	global_load_dwordx2 v[9:10], v[9:10], off
.LBB33_36:                              ;   in Loop: Header=BB33_33 Depth=2
	s_or_b64 exec, exec, s[28:29]
	s_waitcnt vmcnt(0)
	ds_write_b64 v12, v[9:10]
	v_cmp_gt_u64_e32 vcc, s[24:25], v[3:4]
	v_mov_b32_e32 v9, s20
	v_mov_b32_e32 v10, s21
	s_and_saveexec_b64 s[28:29], vcc
	s_cbranch_execz .LBB33_38
; %bb.37:                               ;   in Loop: Header=BB33_33 Depth=2
	v_lshlrev_b64 v[9:10], 3, v[3:4]
	v_add_co_u32_e32 v9, vcc, v15, v9
	v_addc_co_u32_e32 v10, vcc, v16, v10, vcc
	global_load_dwordx2 v[9:10], v[9:10], off
.LBB33_38:                              ;   in Loop: Header=BB33_33 Depth=2
	s_or_b64 exec, exec, s[28:29]
	s_waitcnt vmcnt(0)
	ds_write_b64 v13, v[9:10]
	s_and_b64 exec, exec, s[0:1]
	s_cbranch_execz .LBB33_40
; %bb.39:                               ;   in Loop: Header=BB33_33 Depth=2
	ds_read_b64 v[9:10], v11
	s_waitcnt lgkmcnt(0)
	v_mul_lo_u32 v10, v10, v7
	v_mul_lo_u32 v19, v9, v8
	v_mad_u64_u32 v[7:8], s[28:29], v9, v7, 0
	v_add3_u32 v8, v8, v19, v10
	ds_write_b64 v11, v[7:8]
.LBB33_40:                              ;   in Loop: Header=BB33_33 Depth=2
	s_or_b64 exec, exec, s[26:27]
	v_mov_b32_e32 v19, 0
	s_mov_b64 s[26:27], 0
	s_waitcnt lgkmcnt(0)
	s_barrier
	s_branch .LBB33_43
.LBB33_41:                              ;   in Loop: Header=BB33_43 Depth=3
	s_or_b64 exec, exec, s[30:31]
	v_lshrrev_b32_e32 v9, v19, v0
	v_lshl_or_b32 v7, v9, v10, v7
	v_lshl_add_u32 v7, v7, 3, v11
	v_lshl_add_u32 v9, v8, 3, v7
	v_add_u32_e32 v19, -8, v7
	ds_read_b64 v[7:8], v9
	ds_read_b64 v[19:20], v19
	s_waitcnt lgkmcnt(0)
	v_mul_lo_u32 v20, v20, v7
	v_mul_lo_u32 v21, v19, v8
	v_mad_u64_u32 v[7:8], s[30:31], v19, v7, 0
	v_add3_u32 v8, v8, v21, v20
	ds_write_b64 v9, v[7:8]
.LBB33_42:                              ;   in Loop: Header=BB33_43 Depth=3
	s_or_b64 exec, exec, s[28:29]
	v_cmp_eq_u32_e32 vcc, s34, v10
	s_or_b64 s[26:27], vcc, s[26:27]
	v_mov_b32_e32 v19, v10
	s_waitcnt lgkmcnt(0)
	s_barrier
	s_andn2_b64 exec, exec, s[26:27]
	s_cbranch_execz .LBB33_48
.LBB33_43:                              ;   Parent Loop BB33_30 Depth=1
                                        ;     Parent Loop BB33_33 Depth=2
                                        ; =>    This Inner Loop Header: Depth=3
	v_add_u32_e32 v10, 1, v19
	s_and_saveexec_b64 s[28:29], s[6:7]
	s_xor_b64 s[28:29], exec, s[28:29]
; %bb.44:                               ;   in Loop: Header=BB33_43 Depth=3
	v_add_u32_e32 v10, 1, v19
                                        ; implicit-def: $vgpr19
; %bb.45:                               ;   in Loop: Header=BB33_43 Depth=3
	s_andn2_saveexec_b64 s[28:29], s[28:29]
	s_cbranch_execz .LBB33_42
; %bb.46:                               ;   in Loop: Header=BB33_43 Depth=3
	v_lshlrev_b32_e64 v7, v19, 1
	v_ashrrev_i32_e32 v8, 31, v7
	v_cmp_ge_u64_e32 vcc, v[0:1], v[7:8]
	v_mov_b32_e32 v9, v1
	v_mov_b32_e32 v8, v0
	s_and_saveexec_b64 s[30:31], vcc
	s_cbranch_execz .LBB33_41
; %bb.47:                               ;   in Loop: Header=BB33_43 Depth=3
	v_cvt_f32_u32_e32 v8, v7
	v_sub_u32_e32 v9, 0, v7
	v_rcp_iflag_f32_e32 v8, v8
	v_mul_f32_e32 v8, 0x4f7ffffe, v8
	v_cvt_u32_f32_e32 v8, v8
	v_mul_lo_u32 v9, v9, v8
	v_mul_hi_u32 v9, v8, v9
	v_add_u32_e32 v8, v8, v9
	v_mul_hi_u32 v8, v0, v8
	v_mul_lo_u32 v8, v8, v7
	v_sub_u32_e32 v8, v0, v8
	v_sub_u32_e32 v9, v8, v7
	v_cmp_ge_u32_e32 vcc, v8, v7
	v_cndmask_b32_e32 v8, v8, v9, vcc
	v_sub_u32_e32 v9, v8, v7
	v_cmp_ge_u32_e32 vcc, v8, v7
	v_cndmask_b32_e32 v8, v8, v9, vcc
	s_branch .LBB33_41
.LBB33_48:                              ;   in Loop: Header=BB33_33 Depth=2
	s_or_b64 exec, exec, s[26:27]
	s_and_saveexec_b64 s[26:27], s[4:5]
	s_cbranch_execz .LBB33_32
; %bb.49:                               ;   in Loop: Header=BB33_33 Depth=2
	v_cmp_gt_u64_e32 vcc, s[24:25], v[5:6]
	s_and_saveexec_b64 s[28:29], vcc
	s_cbranch_execz .LBB33_51
; %bb.50:                               ;   in Loop: Header=BB33_33 Depth=2
	ds_read_b64 v[7:8], v12
	v_lshlrev_b64 v[5:6], 3, v[5:6]
	v_add_co_u32_e32 v5, vcc, v17, v5
	v_addc_co_u32_e32 v6, vcc, v18, v6, vcc
	s_waitcnt lgkmcnt(0)
	global_store_dwordx2 v[5:6], v[7:8], off
.LBB33_51:                              ;   in Loop: Header=BB33_33 Depth=2
	s_or_b64 exec, exec, s[28:29]
	v_cmp_gt_u64_e32 vcc, s[24:25], v[3:4]
	s_and_b64 exec, exec, vcc
	s_cbranch_execz .LBB33_32
; %bb.52:                               ;   in Loop: Header=BB33_33 Depth=2
	ds_read_b64 v[5:6], v13
	v_lshlrev_b64 v[3:4], 3, v[3:4]
	v_add_co_u32_e32 v3, vcc, v17, v3
	v_addc_co_u32_e32 v4, vcc, v18, v4, vcc
	s_waitcnt lgkmcnt(0)
	global_store_dwordx2 v[3:4], v[5:6], off
	s_branch .LBB33_32
.LBB33_53:
	s_endpgm
	.section	.rodata,"a",@progbits
	.p2align	6, 0x0
	.amdhsa_kernel _ZN2at6native32tensor_kernel_scan_innermost_dimIlSt10multipliesIlEEEvPT_PKS4_jjjS4_T0_
		.amdhsa_group_segment_fixed_size 0
		.amdhsa_private_segment_fixed_size 0
		.amdhsa_kernarg_size 304
		.amdhsa_user_sgpr_count 6
		.amdhsa_user_sgpr_private_segment_buffer 1
		.amdhsa_user_sgpr_dispatch_ptr 0
		.amdhsa_user_sgpr_queue_ptr 0
		.amdhsa_user_sgpr_kernarg_segment_ptr 1
		.amdhsa_user_sgpr_dispatch_id 0
		.amdhsa_user_sgpr_flat_scratch_init 0
		.amdhsa_user_sgpr_private_segment_size 0
		.amdhsa_uses_dynamic_stack 0
		.amdhsa_system_sgpr_private_segment_wavefront_offset 0
		.amdhsa_system_sgpr_workgroup_id_x 1
		.amdhsa_system_sgpr_workgroup_id_y 0
		.amdhsa_system_sgpr_workgroup_id_z 0
		.amdhsa_system_sgpr_workgroup_info 0
		.amdhsa_system_vgpr_workitem_id 1
		.amdhsa_next_free_vgpr 22
		.amdhsa_next_free_sgpr 35
		.amdhsa_reserve_vcc 1
		.amdhsa_reserve_flat_scratch 0
		.amdhsa_float_round_mode_32 0
		.amdhsa_float_round_mode_16_64 0
		.amdhsa_float_denorm_mode_32 3
		.amdhsa_float_denorm_mode_16_64 3
		.amdhsa_dx10_clamp 1
		.amdhsa_ieee_mode 1
		.amdhsa_fp16_overflow 0
		.amdhsa_exception_fp_ieee_invalid_op 0
		.amdhsa_exception_fp_denorm_src 0
		.amdhsa_exception_fp_ieee_div_zero 0
		.amdhsa_exception_fp_ieee_overflow 0
		.amdhsa_exception_fp_ieee_underflow 0
		.amdhsa_exception_fp_ieee_inexact 0
		.amdhsa_exception_int_div_zero 0
	.end_amdhsa_kernel
	.section	.text._ZN2at6native32tensor_kernel_scan_innermost_dimIlSt10multipliesIlEEEvPT_PKS4_jjjS4_T0_,"axG",@progbits,_ZN2at6native32tensor_kernel_scan_innermost_dimIlSt10multipliesIlEEEvPT_PKS4_jjjS4_T0_,comdat
.Lfunc_end33:
	.size	_ZN2at6native32tensor_kernel_scan_innermost_dimIlSt10multipliesIlEEEvPT_PKS4_jjjS4_T0_, .Lfunc_end33-_ZN2at6native32tensor_kernel_scan_innermost_dimIlSt10multipliesIlEEEvPT_PKS4_jjjS4_T0_
                                        ; -- End function
	.set _ZN2at6native32tensor_kernel_scan_innermost_dimIlSt10multipliesIlEEEvPT_PKS4_jjjS4_T0_.num_vgpr, 22
	.set _ZN2at6native32tensor_kernel_scan_innermost_dimIlSt10multipliesIlEEEvPT_PKS4_jjjS4_T0_.num_agpr, 0
	.set _ZN2at6native32tensor_kernel_scan_innermost_dimIlSt10multipliesIlEEEvPT_PKS4_jjjS4_T0_.numbered_sgpr, 35
	.set _ZN2at6native32tensor_kernel_scan_innermost_dimIlSt10multipliesIlEEEvPT_PKS4_jjjS4_T0_.num_named_barrier, 0
	.set _ZN2at6native32tensor_kernel_scan_innermost_dimIlSt10multipliesIlEEEvPT_PKS4_jjjS4_T0_.private_seg_size, 0
	.set _ZN2at6native32tensor_kernel_scan_innermost_dimIlSt10multipliesIlEEEvPT_PKS4_jjjS4_T0_.uses_vcc, 1
	.set _ZN2at6native32tensor_kernel_scan_innermost_dimIlSt10multipliesIlEEEvPT_PKS4_jjjS4_T0_.uses_flat_scratch, 0
	.set _ZN2at6native32tensor_kernel_scan_innermost_dimIlSt10multipliesIlEEEvPT_PKS4_jjjS4_T0_.has_dyn_sized_stack, 0
	.set _ZN2at6native32tensor_kernel_scan_innermost_dimIlSt10multipliesIlEEEvPT_PKS4_jjjS4_T0_.has_recursion, 0
	.set _ZN2at6native32tensor_kernel_scan_innermost_dimIlSt10multipliesIlEEEvPT_PKS4_jjjS4_T0_.has_indirect_call, 0
	.section	.AMDGPU.csdata,"",@progbits
; Kernel info:
; codeLenInByte = 1868
; TotalNumSgprs: 39
; NumVgprs: 22
; ScratchSize: 0
; MemoryBound: 0
; FloatMode: 240
; IeeeMode: 1
; LDSByteSize: 0 bytes/workgroup (compile time only)
; SGPRBlocks: 4
; VGPRBlocks: 5
; NumSGPRsForWavesPerEU: 39
; NumVGPRsForWavesPerEU: 22
; Occupancy: 10
; WaveLimiterHint : 0
; COMPUTE_PGM_RSRC2:SCRATCH_EN: 0
; COMPUTE_PGM_RSRC2:USER_SGPR: 6
; COMPUTE_PGM_RSRC2:TRAP_HANDLER: 0
; COMPUTE_PGM_RSRC2:TGID_X_EN: 1
; COMPUTE_PGM_RSRC2:TGID_Y_EN: 0
; COMPUTE_PGM_RSRC2:TGID_Z_EN: 0
; COMPUTE_PGM_RSRC2:TIDIG_COMP_CNT: 1
	.section	.text._ZN2at6native28tensor_kernel_scan_outer_dimIljSt10multipliesIlEEEvPT_PKS4_jjjS4_T1_,"axG",@progbits,_ZN2at6native28tensor_kernel_scan_outer_dimIljSt10multipliesIlEEEvPT_PKS4_jjjS4_T1_,comdat
	.protected	_ZN2at6native28tensor_kernel_scan_outer_dimIljSt10multipliesIlEEEvPT_PKS4_jjjS4_T1_ ; -- Begin function _ZN2at6native28tensor_kernel_scan_outer_dimIljSt10multipliesIlEEEvPT_PKS4_jjjS4_T1_
	.globl	_ZN2at6native28tensor_kernel_scan_outer_dimIljSt10multipliesIlEEEvPT_PKS4_jjjS4_T1_
	.p2align	8
	.type	_ZN2at6native28tensor_kernel_scan_outer_dimIljSt10multipliesIlEEEvPT_PKS4_jjjS4_T1_,@function
_ZN2at6native28tensor_kernel_scan_outer_dimIljSt10multipliesIlEEEvPT_PKS4_jjjS4_T1_: ; @_ZN2at6native28tensor_kernel_scan_outer_dimIljSt10multipliesIlEEEvPT_PKS4_jjjS4_T1_
; %bb.0:
	s_load_dwordx4 s[8:11], s[4:5], 0x10
	s_waitcnt lgkmcnt(0)
	s_cmp_ge_u32 s6, s8
	s_cbranch_scc1 .LBB34_9
; %bb.1:
	s_load_dword s11, s[4:5], 0x30
	s_load_dword s0, s[4:5], 0x3c
	s_load_dwordx4 s[12:15], s[4:5], 0x0
	s_load_dwordx2 s[16:17], s[4:5], 0x20
	s_add_u32 s18, s4, 48
	s_addc_u32 s19, s5, 0
	s_waitcnt lgkmcnt(0)
	s_and_b32 s30, s0, 0xffff
	s_cmp_lg_u32 s10, 0
	s_mul_i32 s7, s7, s30
	s_cselect_b64 s[2:3], -1, 0
	s_mul_i32 s4, s6, s10
	v_add_u32_e32 v4, s7, v0
	s_mov_b32 s21, 0
	s_mov_b32 s20, s9
	s_mul_i32 s4, s4, s9
	s_mul_i32 s7, s11, s10
	v_cndmask_b32_e64 v0, 0, 1, s[2:3]
	v_cmp_gt_u32_e64 s[0:1], s9, v4
	s_mul_i32 s7, s7, s9
	s_lshl_b64 s[22:23], s[20:21], 3
	v_cmp_ne_u32_e64 s[2:3], 1, v0
	v_mov_b32_e32 v1, 0
	s_mov_b32 s20, s4
	s_branch .LBB34_3
.LBB34_2:                               ;   in Loop: Header=BB34_3 Depth=1
	s_or_b64 exec, exec, s[24:25]
	s_add_i32 s6, s11, s6
	s_add_i32 s20, s20, s7
	s_cmp_ge_u32 s6, s8
	s_cbranch_scc1 .LBB34_9
.LBB34_3:                               ; =>This Loop Header: Depth=1
                                        ;     Child Loop BB34_6 Depth 2
                                        ;       Child Loop BB34_8 Depth 3
	s_and_saveexec_b64 s[24:25], s[0:1]
	s_cbranch_execz .LBB34_2
; %bb.4:                                ;   in Loop: Header=BB34_3 Depth=1
	s_load_dword s31, s[18:19], 0x4
	s_lshl_b64 s[26:27], s[20:21], 3
	s_mov_b64 s[28:29], 0
	v_mov_b32_e32 v0, v4
	s_waitcnt lgkmcnt(0)
	s_mul_i32 s31, s31, s30
	s_branch .LBB34_6
.LBB34_5:                               ;   in Loop: Header=BB34_6 Depth=2
	v_add_u32_e32 v0, s31, v0
	v_cmp_le_u32_e32 vcc, s9, v0
	s_or_b64 s[28:29], vcc, s[28:29]
	s_andn2_b64 exec, exec, s[28:29]
	s_cbranch_execz .LBB34_2
.LBB34_6:                               ;   Parent Loop BB34_3 Depth=1
                                        ; =>  This Loop Header: Depth=2
                                        ;       Child Loop BB34_8 Depth 3
	s_and_b64 vcc, exec, s[2:3]
	s_cbranch_vccnz .LBB34_5
; %bb.7:                                ;   in Loop: Header=BB34_6 Depth=2
	v_lshlrev_b64 v[2:3], 3, v[0:1]
	v_mov_b32_e32 v6, s27
	v_add_co_u32_e32 v5, vcc, s26, v2
	v_addc_co_u32_e32 v6, vcc, v6, v3, vcc
	v_mov_b32_e32 v2, s16
	v_mov_b32_e32 v3, s17
	s_mov_b32 s33, s10
.LBB34_8:                               ;   Parent Loop BB34_3 Depth=1
                                        ;     Parent Loop BB34_6 Depth=2
                                        ; =>    This Inner Loop Header: Depth=3
	v_mov_b32_e32 v8, s15
	v_add_co_u32_e32 v7, vcc, s14, v5
	v_addc_co_u32_e32 v8, vcc, v8, v6, vcc
	global_load_dwordx2 v[7:8], v[7:8], off
	v_mov_b32_e32 v10, s13
	v_add_co_u32_e32 v9, vcc, s12, v5
	s_add_i32 s33, s33, -1
	v_mov_b32_e32 v11, s23
	v_add_co_u32_e64 v5, s[4:5], s22, v5
	v_addc_co_u32_e32 v10, vcc, v10, v6, vcc
	v_addc_co_u32_e64 v6, vcc, v6, v11, s[4:5]
	s_cmp_eq_u32 s33, 0
	s_waitcnt vmcnt(0)
	v_mul_lo_u32 v8, v8, v2
	v_mul_lo_u32 v12, v7, v3
	v_mad_u64_u32 v[2:3], s[34:35], v7, v2, 0
	v_add3_u32 v3, v3, v12, v8
	global_store_dwordx2 v[9:10], v[2:3], off
	s_cbranch_scc0 .LBB34_8
	s_branch .LBB34_5
.LBB34_9:
	s_endpgm
	.section	.rodata,"a",@progbits
	.p2align	6, 0x0
	.amdhsa_kernel _ZN2at6native28tensor_kernel_scan_outer_dimIljSt10multipliesIlEEEvPT_PKS4_jjjS4_T1_
		.amdhsa_group_segment_fixed_size 0
		.amdhsa_private_segment_fixed_size 0
		.amdhsa_kernarg_size 304
		.amdhsa_user_sgpr_count 6
		.amdhsa_user_sgpr_private_segment_buffer 1
		.amdhsa_user_sgpr_dispatch_ptr 0
		.amdhsa_user_sgpr_queue_ptr 0
		.amdhsa_user_sgpr_kernarg_segment_ptr 1
		.amdhsa_user_sgpr_dispatch_id 0
		.amdhsa_user_sgpr_flat_scratch_init 0
		.amdhsa_user_sgpr_private_segment_size 0
		.amdhsa_uses_dynamic_stack 0
		.amdhsa_system_sgpr_private_segment_wavefront_offset 0
		.amdhsa_system_sgpr_workgroup_id_x 1
		.amdhsa_system_sgpr_workgroup_id_y 1
		.amdhsa_system_sgpr_workgroup_id_z 0
		.amdhsa_system_sgpr_workgroup_info 0
		.amdhsa_system_vgpr_workitem_id 0
		.amdhsa_next_free_vgpr 13
		.amdhsa_next_free_sgpr 36
		.amdhsa_reserve_vcc 1
		.amdhsa_reserve_flat_scratch 0
		.amdhsa_float_round_mode_32 0
		.amdhsa_float_round_mode_16_64 0
		.amdhsa_float_denorm_mode_32 3
		.amdhsa_float_denorm_mode_16_64 3
		.amdhsa_dx10_clamp 1
		.amdhsa_ieee_mode 1
		.amdhsa_fp16_overflow 0
		.amdhsa_exception_fp_ieee_invalid_op 0
		.amdhsa_exception_fp_denorm_src 0
		.amdhsa_exception_fp_ieee_div_zero 0
		.amdhsa_exception_fp_ieee_overflow 0
		.amdhsa_exception_fp_ieee_underflow 0
		.amdhsa_exception_fp_ieee_inexact 0
		.amdhsa_exception_int_div_zero 0
	.end_amdhsa_kernel
	.section	.text._ZN2at6native28tensor_kernel_scan_outer_dimIljSt10multipliesIlEEEvPT_PKS4_jjjS4_T1_,"axG",@progbits,_ZN2at6native28tensor_kernel_scan_outer_dimIljSt10multipliesIlEEEvPT_PKS4_jjjS4_T1_,comdat
.Lfunc_end34:
	.size	_ZN2at6native28tensor_kernel_scan_outer_dimIljSt10multipliesIlEEEvPT_PKS4_jjjS4_T1_, .Lfunc_end34-_ZN2at6native28tensor_kernel_scan_outer_dimIljSt10multipliesIlEEEvPT_PKS4_jjjS4_T1_
                                        ; -- End function
	.set _ZN2at6native28tensor_kernel_scan_outer_dimIljSt10multipliesIlEEEvPT_PKS4_jjjS4_T1_.num_vgpr, 13
	.set _ZN2at6native28tensor_kernel_scan_outer_dimIljSt10multipliesIlEEEvPT_PKS4_jjjS4_T1_.num_agpr, 0
	.set _ZN2at6native28tensor_kernel_scan_outer_dimIljSt10multipliesIlEEEvPT_PKS4_jjjS4_T1_.numbered_sgpr, 36
	.set _ZN2at6native28tensor_kernel_scan_outer_dimIljSt10multipliesIlEEEvPT_PKS4_jjjS4_T1_.num_named_barrier, 0
	.set _ZN2at6native28tensor_kernel_scan_outer_dimIljSt10multipliesIlEEEvPT_PKS4_jjjS4_T1_.private_seg_size, 0
	.set _ZN2at6native28tensor_kernel_scan_outer_dimIljSt10multipliesIlEEEvPT_PKS4_jjjS4_T1_.uses_vcc, 1
	.set _ZN2at6native28tensor_kernel_scan_outer_dimIljSt10multipliesIlEEEvPT_PKS4_jjjS4_T1_.uses_flat_scratch, 0
	.set _ZN2at6native28tensor_kernel_scan_outer_dimIljSt10multipliesIlEEEvPT_PKS4_jjjS4_T1_.has_dyn_sized_stack, 0
	.set _ZN2at6native28tensor_kernel_scan_outer_dimIljSt10multipliesIlEEEvPT_PKS4_jjjS4_T1_.has_recursion, 0
	.set _ZN2at6native28tensor_kernel_scan_outer_dimIljSt10multipliesIlEEEvPT_PKS4_jjjS4_T1_.has_indirect_call, 0
	.section	.AMDGPU.csdata,"",@progbits
; Kernel info:
; codeLenInByte = 388
; TotalNumSgprs: 40
; NumVgprs: 13
; ScratchSize: 0
; MemoryBound: 0
; FloatMode: 240
; IeeeMode: 1
; LDSByteSize: 0 bytes/workgroup (compile time only)
; SGPRBlocks: 4
; VGPRBlocks: 3
; NumSGPRsForWavesPerEU: 40
; NumVGPRsForWavesPerEU: 13
; Occupancy: 10
; WaveLimiterHint : 0
; COMPUTE_PGM_RSRC2:SCRATCH_EN: 0
; COMPUTE_PGM_RSRC2:USER_SGPR: 6
; COMPUTE_PGM_RSRC2:TRAP_HANDLER: 0
; COMPUTE_PGM_RSRC2:TGID_X_EN: 1
; COMPUTE_PGM_RSRC2:TGID_Y_EN: 1
; COMPUTE_PGM_RSRC2:TGID_Z_EN: 0
; COMPUTE_PGM_RSRC2:TIDIG_COMP_CNT: 0
	.section	.text._ZN2at6native28tensor_kernel_scan_outer_dimIlmSt10multipliesIlEEEvPT_PKS4_jjjS4_T1_,"axG",@progbits,_ZN2at6native28tensor_kernel_scan_outer_dimIlmSt10multipliesIlEEEvPT_PKS4_jjjS4_T1_,comdat
	.protected	_ZN2at6native28tensor_kernel_scan_outer_dimIlmSt10multipliesIlEEEvPT_PKS4_jjjS4_T1_ ; -- Begin function _ZN2at6native28tensor_kernel_scan_outer_dimIlmSt10multipliesIlEEEvPT_PKS4_jjjS4_T1_
	.globl	_ZN2at6native28tensor_kernel_scan_outer_dimIlmSt10multipliesIlEEEvPT_PKS4_jjjS4_T1_
	.p2align	8
	.type	_ZN2at6native28tensor_kernel_scan_outer_dimIlmSt10multipliesIlEEEvPT_PKS4_jjjS4_T1_,@function
_ZN2at6native28tensor_kernel_scan_outer_dimIlmSt10multipliesIlEEEvPT_PKS4_jjjS4_T1_: ; @_ZN2at6native28tensor_kernel_scan_outer_dimIlmSt10multipliesIlEEEvPT_PKS4_jjjS4_T1_
; %bb.0:
	s_load_dwordx4 s[8:11], s[4:5], 0x10
	s_waitcnt lgkmcnt(0)
	s_cmp_ge_u32 s6, s8
	s_cbranch_scc1 .LBB35_9
; %bb.1:
	s_load_dword s11, s[4:5], 0x30
	s_load_dword s0, s[4:5], 0x3c
	s_load_dwordx4 s[12:15], s[4:5], 0x0
	s_load_dwordx2 s[16:17], s[4:5], 0x20
	s_add_u32 s18, s4, 48
	s_addc_u32 s19, s5, 0
	s_waitcnt lgkmcnt(0)
	s_and_b32 s28, s0, 0xffff
	s_cmp_lg_u32 s10, 0
	s_mul_i32 s7, s7, s28
	s_cselect_b64 s[4:5], -1, 0
	v_add_u32_e32 v4, s7, v0
	s_mov_b32 s3, 0
	s_mov_b32 s2, s9
	s_mul_hi_u32 s21, s10, s9
	s_mul_i32 s20, s10, s9
	v_cndmask_b32_e64 v0, 0, 1, s[4:5]
	v_cmp_gt_u32_e64 s[0:1], s9, v4
	s_lshl_b64 s[20:21], s[20:21], 3
	s_lshl_b64 s[22:23], s[2:3], 3
	v_cmp_ne_u32_e64 s[2:3], 1, v0
	v_mov_b32_e32 v1, 0
	s_branch .LBB35_3
.LBB35_2:                               ;   in Loop: Header=BB35_3 Depth=1
	s_or_b64 exec, exec, s[24:25]
	s_add_i32 s6, s6, s11
	s_cmp_ge_u32 s6, s8
	s_cbranch_scc1 .LBB35_9
.LBB35_3:                               ; =>This Loop Header: Depth=1
                                        ;     Child Loop BB35_6 Depth 2
                                        ;       Child Loop BB35_8 Depth 3
	s_and_saveexec_b64 s[24:25], s[0:1]
	s_cbranch_execz .LBB35_2
; %bb.4:                                ;   in Loop: Header=BB35_3 Depth=1
	s_load_dword s30, s[18:19], 0x4
	s_mul_i32 s4, s21, s6
	s_mul_hi_u32 s5, s20, s6
	s_mul_i32 s7, s20, s6
	s_add_i32 s29, s5, s4
	s_waitcnt lgkmcnt(0)
	s_mul_i32 s30, s30, s28
	s_mov_b64 s[26:27], 0
	v_mov_b32_e32 v0, v4
	s_branch .LBB35_6
.LBB35_5:                               ;   in Loop: Header=BB35_6 Depth=2
	v_add_u32_e32 v0, s30, v0
	v_cmp_le_u32_e32 vcc, s9, v0
	s_or_b64 s[26:27], vcc, s[26:27]
	s_andn2_b64 exec, exec, s[26:27]
	s_cbranch_execz .LBB35_2
.LBB35_6:                               ;   Parent Loop BB35_3 Depth=1
                                        ; =>  This Loop Header: Depth=2
                                        ;       Child Loop BB35_8 Depth 3
	s_and_b64 vcc, exec, s[2:3]
	s_cbranch_vccnz .LBB35_5
; %bb.7:                                ;   in Loop: Header=BB35_6 Depth=2
	v_lshlrev_b64 v[2:3], 3, v[0:1]
	v_mov_b32_e32 v6, s29
	v_add_co_u32_e32 v5, vcc, s7, v2
	v_addc_co_u32_e32 v6, vcc, v6, v3, vcc
	v_mov_b32_e32 v2, s16
	v_mov_b32_e32 v3, s17
	s_mov_b32 s31, s10
.LBB35_8:                               ;   Parent Loop BB35_3 Depth=1
                                        ;     Parent Loop BB35_6 Depth=2
                                        ; =>    This Inner Loop Header: Depth=3
	v_mov_b32_e32 v8, s15
	v_add_co_u32_e32 v7, vcc, s14, v5
	v_addc_co_u32_e32 v8, vcc, v8, v6, vcc
	global_load_dwordx2 v[7:8], v[7:8], off
	v_mov_b32_e32 v10, s13
	v_add_co_u32_e32 v9, vcc, s12, v5
	s_add_i32 s31, s31, -1
	v_mov_b32_e32 v11, s23
	v_add_co_u32_e64 v5, s[4:5], s22, v5
	v_addc_co_u32_e32 v10, vcc, v10, v6, vcc
	v_addc_co_u32_e64 v6, vcc, v6, v11, s[4:5]
	s_cmp_eq_u32 s31, 0
	s_waitcnt vmcnt(0)
	v_mul_lo_u32 v8, v8, v2
	v_mul_lo_u32 v12, v7, v3
	v_mad_u64_u32 v[2:3], s[34:35], v7, v2, 0
	v_add3_u32 v3, v3, v12, v8
	global_store_dwordx2 v[9:10], v[2:3], off
	s_cbranch_scc0 .LBB35_8
	s_branch .LBB35_5
.LBB35_9:
	s_endpgm
	.section	.rodata,"a",@progbits
	.p2align	6, 0x0
	.amdhsa_kernel _ZN2at6native28tensor_kernel_scan_outer_dimIlmSt10multipliesIlEEEvPT_PKS4_jjjS4_T1_
		.amdhsa_group_segment_fixed_size 0
		.amdhsa_private_segment_fixed_size 0
		.amdhsa_kernarg_size 304
		.amdhsa_user_sgpr_count 6
		.amdhsa_user_sgpr_private_segment_buffer 1
		.amdhsa_user_sgpr_dispatch_ptr 0
		.amdhsa_user_sgpr_queue_ptr 0
		.amdhsa_user_sgpr_kernarg_segment_ptr 1
		.amdhsa_user_sgpr_dispatch_id 0
		.amdhsa_user_sgpr_flat_scratch_init 0
		.amdhsa_user_sgpr_private_segment_size 0
		.amdhsa_uses_dynamic_stack 0
		.amdhsa_system_sgpr_private_segment_wavefront_offset 0
		.amdhsa_system_sgpr_workgroup_id_x 1
		.amdhsa_system_sgpr_workgroup_id_y 1
		.amdhsa_system_sgpr_workgroup_id_z 0
		.amdhsa_system_sgpr_workgroup_info 0
		.amdhsa_system_vgpr_workitem_id 0
		.amdhsa_next_free_vgpr 13
		.amdhsa_next_free_sgpr 36
		.amdhsa_reserve_vcc 1
		.amdhsa_reserve_flat_scratch 0
		.amdhsa_float_round_mode_32 0
		.amdhsa_float_round_mode_16_64 0
		.amdhsa_float_denorm_mode_32 3
		.amdhsa_float_denorm_mode_16_64 3
		.amdhsa_dx10_clamp 1
		.amdhsa_ieee_mode 1
		.amdhsa_fp16_overflow 0
		.amdhsa_exception_fp_ieee_invalid_op 0
		.amdhsa_exception_fp_denorm_src 0
		.amdhsa_exception_fp_ieee_div_zero 0
		.amdhsa_exception_fp_ieee_overflow 0
		.amdhsa_exception_fp_ieee_underflow 0
		.amdhsa_exception_fp_ieee_inexact 0
		.amdhsa_exception_int_div_zero 0
	.end_amdhsa_kernel
	.section	.text._ZN2at6native28tensor_kernel_scan_outer_dimIlmSt10multipliesIlEEEvPT_PKS4_jjjS4_T1_,"axG",@progbits,_ZN2at6native28tensor_kernel_scan_outer_dimIlmSt10multipliesIlEEEvPT_PKS4_jjjS4_T1_,comdat
.Lfunc_end35:
	.size	_ZN2at6native28tensor_kernel_scan_outer_dimIlmSt10multipliesIlEEEvPT_PKS4_jjjS4_T1_, .Lfunc_end35-_ZN2at6native28tensor_kernel_scan_outer_dimIlmSt10multipliesIlEEEvPT_PKS4_jjjS4_T1_
                                        ; -- End function
	.set _ZN2at6native28tensor_kernel_scan_outer_dimIlmSt10multipliesIlEEEvPT_PKS4_jjjS4_T1_.num_vgpr, 13
	.set _ZN2at6native28tensor_kernel_scan_outer_dimIlmSt10multipliesIlEEEvPT_PKS4_jjjS4_T1_.num_agpr, 0
	.set _ZN2at6native28tensor_kernel_scan_outer_dimIlmSt10multipliesIlEEEvPT_PKS4_jjjS4_T1_.numbered_sgpr, 36
	.set _ZN2at6native28tensor_kernel_scan_outer_dimIlmSt10multipliesIlEEEvPT_PKS4_jjjS4_T1_.num_named_barrier, 0
	.set _ZN2at6native28tensor_kernel_scan_outer_dimIlmSt10multipliesIlEEEvPT_PKS4_jjjS4_T1_.private_seg_size, 0
	.set _ZN2at6native28tensor_kernel_scan_outer_dimIlmSt10multipliesIlEEEvPT_PKS4_jjjS4_T1_.uses_vcc, 1
	.set _ZN2at6native28tensor_kernel_scan_outer_dimIlmSt10multipliesIlEEEvPT_PKS4_jjjS4_T1_.uses_flat_scratch, 0
	.set _ZN2at6native28tensor_kernel_scan_outer_dimIlmSt10multipliesIlEEEvPT_PKS4_jjjS4_T1_.has_dyn_sized_stack, 0
	.set _ZN2at6native28tensor_kernel_scan_outer_dimIlmSt10multipliesIlEEEvPT_PKS4_jjjS4_T1_.has_recursion, 0
	.set _ZN2at6native28tensor_kernel_scan_outer_dimIlmSt10multipliesIlEEEvPT_PKS4_jjjS4_T1_.has_indirect_call, 0
	.section	.AMDGPU.csdata,"",@progbits
; Kernel info:
; codeLenInByte = 388
; TotalNumSgprs: 40
; NumVgprs: 13
; ScratchSize: 0
; MemoryBound: 0
; FloatMode: 240
; IeeeMode: 1
; LDSByteSize: 0 bytes/workgroup (compile time only)
; SGPRBlocks: 4
; VGPRBlocks: 3
; NumSGPRsForWavesPerEU: 40
; NumVGPRsForWavesPerEU: 13
; Occupancy: 10
; WaveLimiterHint : 0
; COMPUTE_PGM_RSRC2:SCRATCH_EN: 0
; COMPUTE_PGM_RSRC2:USER_SGPR: 6
; COMPUTE_PGM_RSRC2:TRAP_HANDLER: 0
; COMPUTE_PGM_RSRC2:TGID_X_EN: 1
; COMPUTE_PGM_RSRC2:TGID_Y_EN: 1
; COMPUTE_PGM_RSRC2:TGID_Z_EN: 0
; COMPUTE_PGM_RSRC2:TIDIG_COMP_CNT: 0
	.section	.text._ZN7rocprim17ROCPRIM_304000_NS6detail31init_lookback_scan_state_kernelINS1_19lookback_scan_stateIsLb1ELb1EEEEEvT_jjPNS5_10value_typeE,"axG",@progbits,_ZN7rocprim17ROCPRIM_304000_NS6detail31init_lookback_scan_state_kernelINS1_19lookback_scan_stateIsLb1ELb1EEEEEvT_jjPNS5_10value_typeE,comdat
	.protected	_ZN7rocprim17ROCPRIM_304000_NS6detail31init_lookback_scan_state_kernelINS1_19lookback_scan_stateIsLb1ELb1EEEEEvT_jjPNS5_10value_typeE ; -- Begin function _ZN7rocprim17ROCPRIM_304000_NS6detail31init_lookback_scan_state_kernelINS1_19lookback_scan_stateIsLb1ELb1EEEEEvT_jjPNS5_10value_typeE
	.globl	_ZN7rocprim17ROCPRIM_304000_NS6detail31init_lookback_scan_state_kernelINS1_19lookback_scan_stateIsLb1ELb1EEEEEvT_jjPNS5_10value_typeE
	.p2align	8
	.type	_ZN7rocprim17ROCPRIM_304000_NS6detail31init_lookback_scan_state_kernelINS1_19lookback_scan_stateIsLb1ELb1EEEEEvT_jjPNS5_10value_typeE,@function
_ZN7rocprim17ROCPRIM_304000_NS6detail31init_lookback_scan_state_kernelINS1_19lookback_scan_stateIsLb1ELb1EEEEEvT_jjPNS5_10value_typeE: ; @_ZN7rocprim17ROCPRIM_304000_NS6detail31init_lookback_scan_state_kernelINS1_19lookback_scan_stateIsLb1ELb1EEEEEvT_jjPNS5_10value_typeE
; %bb.0:
	s_load_dword s7, s[4:5], 0x24
	s_load_dwordx2 s[8:9], s[4:5], 0x10
	s_load_dwordx4 s[0:3], s[4:5], 0x0
	s_waitcnt lgkmcnt(0)
	s_and_b32 s4, s7, 0xffff
	s_mul_i32 s6, s6, s4
	s_cmp_eq_u64 s[8:9], 0
	v_add_u32_e32 v0, s6, v0
	s_cbranch_scc1 .LBB36_9
; %bb.1:
	s_cmp_lt_u32 s3, s2
	s_cselect_b32 s4, s3, 0
	s_mov_b32 s7, 0
	v_cmp_eq_u32_e32 vcc, s4, v0
	s_and_saveexec_b64 s[4:5], vcc
	s_cbranch_execz .LBB36_8
; %bb.2:
	s_add_i32 s6, s3, 64
	s_lshl_b64 s[6:7], s[6:7], 2
	s_add_u32 s6, s0, s6
	s_addc_u32 s7, s1, s7
	v_mov_b32_e32 v1, 0
	global_load_dword v2, v1, s[6:7] glc
	s_waitcnt vmcnt(0)
	v_and_b32_e32 v3, 0xff0000, v2
	v_cmp_ne_u32_e32 vcc, 0, v3
	s_cbranch_vccnz .LBB36_7
; %bb.3:
	s_mov_b32 s3, 1
.LBB36_4:                               ; =>This Loop Header: Depth=1
                                        ;     Child Loop BB36_5 Depth 2
	s_mov_b32 s10, s3
.LBB36_5:                               ;   Parent Loop BB36_4 Depth=1
                                        ; =>  This Inner Loop Header: Depth=2
	s_add_i32 s10, s10, -1
	s_cmp_eq_u32 s10, 0
	s_sleep 1
	s_cbranch_scc0 .LBB36_5
; %bb.6:                                ;   in Loop: Header=BB36_4 Depth=1
	global_load_dword v2, v1, s[6:7] glc
	s_cmp_lt_u32 s3, 32
	s_cselect_b64 s[10:11], -1, 0
	s_cmp_lg_u64 s[10:11], 0
	s_addc_u32 s3, s3, 0
	s_waitcnt vmcnt(0)
	v_and_b32_e32 v3, 0xff0000, v2
	v_cmp_ne_u32_e32 vcc, 0, v3
	s_cbranch_vccz .LBB36_4
.LBB36_7:
	v_mov_b32_e32 v1, 0
	global_store_short v1, v2, s[8:9]
.LBB36_8:
	s_or_b64 exec, exec, s[4:5]
.LBB36_9:
	v_cmp_gt_u32_e32 vcc, s2, v0
	s_and_saveexec_b64 s[2:3], vcc
	s_cbranch_execnz .LBB36_12
; %bb.10:
	s_or_b64 exec, exec, s[2:3]
	v_cmp_gt_u32_e32 vcc, 64, v0
	s_and_saveexec_b64 s[2:3], vcc
	s_cbranch_execnz .LBB36_13
.LBB36_11:
	s_endpgm
.LBB36_12:
	v_add_u32_e32 v1, 64, v0
	v_mov_b32_e32 v2, 0
	v_lshlrev_b64 v[3:4], 2, v[1:2]
	v_mov_b32_e32 v1, s1
	v_add_co_u32_e32 v3, vcc, s0, v3
	v_addc_co_u32_e32 v4, vcc, v1, v4, vcc
	global_store_dword v[3:4], v2, off
	s_or_b64 exec, exec, s[2:3]
	v_cmp_gt_u32_e32 vcc, 64, v0
	s_and_saveexec_b64 s[2:3], vcc
	s_cbranch_execz .LBB36_11
.LBB36_13:
	v_mov_b32_e32 v1, 0
	v_lshlrev_b64 v[0:1], 2, v[0:1]
	v_mov_b32_e32 v2, s1
	v_add_co_u32_e32 v0, vcc, s0, v0
	v_addc_co_u32_e32 v1, vcc, v2, v1, vcc
	v_mov_b32_e32 v2, 0xff0000
	global_store_dword v[0:1], v2, off
	s_endpgm
	.section	.rodata,"a",@progbits
	.p2align	6, 0x0
	.amdhsa_kernel _ZN7rocprim17ROCPRIM_304000_NS6detail31init_lookback_scan_state_kernelINS1_19lookback_scan_stateIsLb1ELb1EEEEEvT_jjPNS5_10value_typeE
		.amdhsa_group_segment_fixed_size 0
		.amdhsa_private_segment_fixed_size 0
		.amdhsa_kernarg_size 280
		.amdhsa_user_sgpr_count 6
		.amdhsa_user_sgpr_private_segment_buffer 1
		.amdhsa_user_sgpr_dispatch_ptr 0
		.amdhsa_user_sgpr_queue_ptr 0
		.amdhsa_user_sgpr_kernarg_segment_ptr 1
		.amdhsa_user_sgpr_dispatch_id 0
		.amdhsa_user_sgpr_flat_scratch_init 0
		.amdhsa_user_sgpr_private_segment_size 0
		.amdhsa_uses_dynamic_stack 0
		.amdhsa_system_sgpr_private_segment_wavefront_offset 0
		.amdhsa_system_sgpr_workgroup_id_x 1
		.amdhsa_system_sgpr_workgroup_id_y 0
		.amdhsa_system_sgpr_workgroup_id_z 0
		.amdhsa_system_sgpr_workgroup_info 0
		.amdhsa_system_vgpr_workitem_id 0
		.amdhsa_next_free_vgpr 5
		.amdhsa_next_free_sgpr 12
		.amdhsa_reserve_vcc 1
		.amdhsa_reserve_flat_scratch 0
		.amdhsa_float_round_mode_32 0
		.amdhsa_float_round_mode_16_64 0
		.amdhsa_float_denorm_mode_32 3
		.amdhsa_float_denorm_mode_16_64 3
		.amdhsa_dx10_clamp 1
		.amdhsa_ieee_mode 1
		.amdhsa_fp16_overflow 0
		.amdhsa_exception_fp_ieee_invalid_op 0
		.amdhsa_exception_fp_denorm_src 0
		.amdhsa_exception_fp_ieee_div_zero 0
		.amdhsa_exception_fp_ieee_overflow 0
		.amdhsa_exception_fp_ieee_underflow 0
		.amdhsa_exception_fp_ieee_inexact 0
		.amdhsa_exception_int_div_zero 0
	.end_amdhsa_kernel
	.section	.text._ZN7rocprim17ROCPRIM_304000_NS6detail31init_lookback_scan_state_kernelINS1_19lookback_scan_stateIsLb1ELb1EEEEEvT_jjPNS5_10value_typeE,"axG",@progbits,_ZN7rocprim17ROCPRIM_304000_NS6detail31init_lookback_scan_state_kernelINS1_19lookback_scan_stateIsLb1ELb1EEEEEvT_jjPNS5_10value_typeE,comdat
.Lfunc_end36:
	.size	_ZN7rocprim17ROCPRIM_304000_NS6detail31init_lookback_scan_state_kernelINS1_19lookback_scan_stateIsLb1ELb1EEEEEvT_jjPNS5_10value_typeE, .Lfunc_end36-_ZN7rocprim17ROCPRIM_304000_NS6detail31init_lookback_scan_state_kernelINS1_19lookback_scan_stateIsLb1ELb1EEEEEvT_jjPNS5_10value_typeE
                                        ; -- End function
	.set _ZN7rocprim17ROCPRIM_304000_NS6detail31init_lookback_scan_state_kernelINS1_19lookback_scan_stateIsLb1ELb1EEEEEvT_jjPNS5_10value_typeE.num_vgpr, 5
	.set _ZN7rocprim17ROCPRIM_304000_NS6detail31init_lookback_scan_state_kernelINS1_19lookback_scan_stateIsLb1ELb1EEEEEvT_jjPNS5_10value_typeE.num_agpr, 0
	.set _ZN7rocprim17ROCPRIM_304000_NS6detail31init_lookback_scan_state_kernelINS1_19lookback_scan_stateIsLb1ELb1EEEEEvT_jjPNS5_10value_typeE.numbered_sgpr, 12
	.set _ZN7rocprim17ROCPRIM_304000_NS6detail31init_lookback_scan_state_kernelINS1_19lookback_scan_stateIsLb1ELb1EEEEEvT_jjPNS5_10value_typeE.num_named_barrier, 0
	.set _ZN7rocprim17ROCPRIM_304000_NS6detail31init_lookback_scan_state_kernelINS1_19lookback_scan_stateIsLb1ELb1EEEEEvT_jjPNS5_10value_typeE.private_seg_size, 0
	.set _ZN7rocprim17ROCPRIM_304000_NS6detail31init_lookback_scan_state_kernelINS1_19lookback_scan_stateIsLb1ELb1EEEEEvT_jjPNS5_10value_typeE.uses_vcc, 1
	.set _ZN7rocprim17ROCPRIM_304000_NS6detail31init_lookback_scan_state_kernelINS1_19lookback_scan_stateIsLb1ELb1EEEEEvT_jjPNS5_10value_typeE.uses_flat_scratch, 0
	.set _ZN7rocprim17ROCPRIM_304000_NS6detail31init_lookback_scan_state_kernelINS1_19lookback_scan_stateIsLb1ELb1EEEEEvT_jjPNS5_10value_typeE.has_dyn_sized_stack, 0
	.set _ZN7rocprim17ROCPRIM_304000_NS6detail31init_lookback_scan_state_kernelINS1_19lookback_scan_stateIsLb1ELb1EEEEEvT_jjPNS5_10value_typeE.has_recursion, 0
	.set _ZN7rocprim17ROCPRIM_304000_NS6detail31init_lookback_scan_state_kernelINS1_19lookback_scan_stateIsLb1ELb1EEEEEvT_jjPNS5_10value_typeE.has_indirect_call, 0
	.section	.AMDGPU.csdata,"",@progbits
; Kernel info:
; codeLenInByte = 336
; TotalNumSgprs: 16
; NumVgprs: 5
; ScratchSize: 0
; MemoryBound: 0
; FloatMode: 240
; IeeeMode: 1
; LDSByteSize: 0 bytes/workgroup (compile time only)
; SGPRBlocks: 1
; VGPRBlocks: 1
; NumSGPRsForWavesPerEU: 16
; NumVGPRsForWavesPerEU: 5
; Occupancy: 10
; WaveLimiterHint : 0
; COMPUTE_PGM_RSRC2:SCRATCH_EN: 0
; COMPUTE_PGM_RSRC2:USER_SGPR: 6
; COMPUTE_PGM_RSRC2:TRAP_HANDLER: 0
; COMPUTE_PGM_RSRC2:TGID_X_EN: 1
; COMPUTE_PGM_RSRC2:TGID_Y_EN: 0
; COMPUTE_PGM_RSRC2:TGID_Z_EN: 0
; COMPUTE_PGM_RSRC2:TIDIG_COMP_CNT: 0
	.section	.text._ZN7rocprim17ROCPRIM_304000_NS6detail31init_lookback_scan_state_kernelINS1_19lookback_scan_stateIsLb0ELb1EEEEEvT_jjPNS5_10value_typeE,"axG",@progbits,_ZN7rocprim17ROCPRIM_304000_NS6detail31init_lookback_scan_state_kernelINS1_19lookback_scan_stateIsLb0ELb1EEEEEvT_jjPNS5_10value_typeE,comdat
	.protected	_ZN7rocprim17ROCPRIM_304000_NS6detail31init_lookback_scan_state_kernelINS1_19lookback_scan_stateIsLb0ELb1EEEEEvT_jjPNS5_10value_typeE ; -- Begin function _ZN7rocprim17ROCPRIM_304000_NS6detail31init_lookback_scan_state_kernelINS1_19lookback_scan_stateIsLb0ELb1EEEEEvT_jjPNS5_10value_typeE
	.globl	_ZN7rocprim17ROCPRIM_304000_NS6detail31init_lookback_scan_state_kernelINS1_19lookback_scan_stateIsLb0ELb1EEEEEvT_jjPNS5_10value_typeE
	.p2align	8
	.type	_ZN7rocprim17ROCPRIM_304000_NS6detail31init_lookback_scan_state_kernelINS1_19lookback_scan_stateIsLb0ELb1EEEEEvT_jjPNS5_10value_typeE,@function
_ZN7rocprim17ROCPRIM_304000_NS6detail31init_lookback_scan_state_kernelINS1_19lookback_scan_stateIsLb0ELb1EEEEEvT_jjPNS5_10value_typeE: ; @_ZN7rocprim17ROCPRIM_304000_NS6detail31init_lookback_scan_state_kernelINS1_19lookback_scan_stateIsLb0ELb1EEEEEvT_jjPNS5_10value_typeE
; %bb.0:
	s_load_dword s7, s[4:5], 0x24
	s_load_dwordx2 s[8:9], s[4:5], 0x10
	s_load_dwordx4 s[0:3], s[4:5], 0x0
	s_waitcnt lgkmcnt(0)
	s_and_b32 s4, s7, 0xffff
	s_mul_i32 s6, s6, s4
	s_cmp_eq_u64 s[8:9], 0
	v_add_u32_e32 v0, s6, v0
	s_cbranch_scc1 .LBB37_6
; %bb.1:
	s_cmp_lt_u32 s3, s2
	s_cselect_b32 s4, s3, 0
	s_mov_b32 s7, 0
	v_cmp_eq_u32_e32 vcc, s4, v0
	s_and_saveexec_b64 s[4:5], vcc
	s_cbranch_execz .LBB37_5
; %bb.2:
	s_add_i32 s6, s3, 64
	s_lshl_b64 s[6:7], s[6:7], 2
	s_add_u32 s6, s0, s6
	s_addc_u32 s7, s1, s7
	v_mov_b32_e32 v2, 0
	global_load_dword v1, v2, s[6:7] glc
	s_waitcnt vmcnt(0)
	v_and_b32_e32 v3, 0xff0000, v1
	v_cmp_ne_u32_e32 vcc, 0, v3
	s_cbranch_vccnz .LBB37_4
.LBB37_3:                               ; =>This Inner Loop Header: Depth=1
	global_load_dword v1, v2, s[6:7] glc
	s_waitcnt vmcnt(0)
	v_and_b32_e32 v3, 0xff0000, v1
	v_cmp_eq_u32_e32 vcc, 0, v3
	s_cbranch_vccnz .LBB37_3
.LBB37_4:
	v_mov_b32_e32 v2, 0
	global_store_short v2, v1, s[8:9]
.LBB37_5:
	s_or_b64 exec, exec, s[4:5]
.LBB37_6:
	v_cmp_gt_u32_e32 vcc, s2, v0
	s_and_saveexec_b64 s[2:3], vcc
	s_cbranch_execnz .LBB37_9
; %bb.7:
	s_or_b64 exec, exec, s[2:3]
	v_cmp_gt_u32_e32 vcc, 64, v0
	s_and_saveexec_b64 s[2:3], vcc
	s_cbranch_execnz .LBB37_10
.LBB37_8:
	s_endpgm
.LBB37_9:
	v_add_u32_e32 v1, 64, v0
	v_mov_b32_e32 v2, 0
	v_lshlrev_b64 v[3:4], 2, v[1:2]
	v_mov_b32_e32 v1, s1
	v_add_co_u32_e32 v3, vcc, s0, v3
	v_addc_co_u32_e32 v4, vcc, v1, v4, vcc
	global_store_dword v[3:4], v2, off
	s_or_b64 exec, exec, s[2:3]
	v_cmp_gt_u32_e32 vcc, 64, v0
	s_and_saveexec_b64 s[2:3], vcc
	s_cbranch_execz .LBB37_8
.LBB37_10:
	v_mov_b32_e32 v1, 0
	v_lshlrev_b64 v[0:1], 2, v[0:1]
	v_mov_b32_e32 v2, s1
	v_add_co_u32_e32 v0, vcc, s0, v0
	v_addc_co_u32_e32 v1, vcc, v2, v1, vcc
	v_mov_b32_e32 v2, 0xff0000
	global_store_dword v[0:1], v2, off
	s_endpgm
	.section	.rodata,"a",@progbits
	.p2align	6, 0x0
	.amdhsa_kernel _ZN7rocprim17ROCPRIM_304000_NS6detail31init_lookback_scan_state_kernelINS1_19lookback_scan_stateIsLb0ELb1EEEEEvT_jjPNS5_10value_typeE
		.amdhsa_group_segment_fixed_size 0
		.amdhsa_private_segment_fixed_size 0
		.amdhsa_kernarg_size 280
		.amdhsa_user_sgpr_count 6
		.amdhsa_user_sgpr_private_segment_buffer 1
		.amdhsa_user_sgpr_dispatch_ptr 0
		.amdhsa_user_sgpr_queue_ptr 0
		.amdhsa_user_sgpr_kernarg_segment_ptr 1
		.amdhsa_user_sgpr_dispatch_id 0
		.amdhsa_user_sgpr_flat_scratch_init 0
		.amdhsa_user_sgpr_private_segment_size 0
		.amdhsa_uses_dynamic_stack 0
		.amdhsa_system_sgpr_private_segment_wavefront_offset 0
		.amdhsa_system_sgpr_workgroup_id_x 1
		.amdhsa_system_sgpr_workgroup_id_y 0
		.amdhsa_system_sgpr_workgroup_id_z 0
		.amdhsa_system_sgpr_workgroup_info 0
		.amdhsa_system_vgpr_workitem_id 0
		.amdhsa_next_free_vgpr 5
		.amdhsa_next_free_sgpr 10
		.amdhsa_reserve_vcc 1
		.amdhsa_reserve_flat_scratch 0
		.amdhsa_float_round_mode_32 0
		.amdhsa_float_round_mode_16_64 0
		.amdhsa_float_denorm_mode_32 3
		.amdhsa_float_denorm_mode_16_64 3
		.amdhsa_dx10_clamp 1
		.amdhsa_ieee_mode 1
		.amdhsa_fp16_overflow 0
		.amdhsa_exception_fp_ieee_invalid_op 0
		.amdhsa_exception_fp_denorm_src 0
		.amdhsa_exception_fp_ieee_div_zero 0
		.amdhsa_exception_fp_ieee_overflow 0
		.amdhsa_exception_fp_ieee_underflow 0
		.amdhsa_exception_fp_ieee_inexact 0
		.amdhsa_exception_int_div_zero 0
	.end_amdhsa_kernel
	.section	.text._ZN7rocprim17ROCPRIM_304000_NS6detail31init_lookback_scan_state_kernelINS1_19lookback_scan_stateIsLb0ELb1EEEEEvT_jjPNS5_10value_typeE,"axG",@progbits,_ZN7rocprim17ROCPRIM_304000_NS6detail31init_lookback_scan_state_kernelINS1_19lookback_scan_stateIsLb0ELb1EEEEEvT_jjPNS5_10value_typeE,comdat
.Lfunc_end37:
	.size	_ZN7rocprim17ROCPRIM_304000_NS6detail31init_lookback_scan_state_kernelINS1_19lookback_scan_stateIsLb0ELb1EEEEEvT_jjPNS5_10value_typeE, .Lfunc_end37-_ZN7rocprim17ROCPRIM_304000_NS6detail31init_lookback_scan_state_kernelINS1_19lookback_scan_stateIsLb0ELb1EEEEEvT_jjPNS5_10value_typeE
                                        ; -- End function
	.set _ZN7rocprim17ROCPRIM_304000_NS6detail31init_lookback_scan_state_kernelINS1_19lookback_scan_stateIsLb0ELb1EEEEEvT_jjPNS5_10value_typeE.num_vgpr, 5
	.set _ZN7rocprim17ROCPRIM_304000_NS6detail31init_lookback_scan_state_kernelINS1_19lookback_scan_stateIsLb0ELb1EEEEEvT_jjPNS5_10value_typeE.num_agpr, 0
	.set _ZN7rocprim17ROCPRIM_304000_NS6detail31init_lookback_scan_state_kernelINS1_19lookback_scan_stateIsLb0ELb1EEEEEvT_jjPNS5_10value_typeE.numbered_sgpr, 10
	.set _ZN7rocprim17ROCPRIM_304000_NS6detail31init_lookback_scan_state_kernelINS1_19lookback_scan_stateIsLb0ELb1EEEEEvT_jjPNS5_10value_typeE.num_named_barrier, 0
	.set _ZN7rocprim17ROCPRIM_304000_NS6detail31init_lookback_scan_state_kernelINS1_19lookback_scan_stateIsLb0ELb1EEEEEvT_jjPNS5_10value_typeE.private_seg_size, 0
	.set _ZN7rocprim17ROCPRIM_304000_NS6detail31init_lookback_scan_state_kernelINS1_19lookback_scan_stateIsLb0ELb1EEEEEvT_jjPNS5_10value_typeE.uses_vcc, 1
	.set _ZN7rocprim17ROCPRIM_304000_NS6detail31init_lookback_scan_state_kernelINS1_19lookback_scan_stateIsLb0ELb1EEEEEvT_jjPNS5_10value_typeE.uses_flat_scratch, 0
	.set _ZN7rocprim17ROCPRIM_304000_NS6detail31init_lookback_scan_state_kernelINS1_19lookback_scan_stateIsLb0ELb1EEEEEvT_jjPNS5_10value_typeE.has_dyn_sized_stack, 0
	.set _ZN7rocprim17ROCPRIM_304000_NS6detail31init_lookback_scan_state_kernelINS1_19lookback_scan_stateIsLb0ELb1EEEEEvT_jjPNS5_10value_typeE.has_recursion, 0
	.set _ZN7rocprim17ROCPRIM_304000_NS6detail31init_lookback_scan_state_kernelINS1_19lookback_scan_stateIsLb0ELb1EEEEEvT_jjPNS5_10value_typeE.has_indirect_call, 0
	.section	.AMDGPU.csdata,"",@progbits
; Kernel info:
; codeLenInByte = 296
; TotalNumSgprs: 14
; NumVgprs: 5
; ScratchSize: 0
; MemoryBound: 0
; FloatMode: 240
; IeeeMode: 1
; LDSByteSize: 0 bytes/workgroup (compile time only)
; SGPRBlocks: 1
; VGPRBlocks: 1
; NumSGPRsForWavesPerEU: 14
; NumVGPRsForWavesPerEU: 5
; Occupancy: 10
; WaveLimiterHint : 0
; COMPUTE_PGM_RSRC2:SCRATCH_EN: 0
; COMPUTE_PGM_RSRC2:USER_SGPR: 6
; COMPUTE_PGM_RSRC2:TRAP_HANDLER: 0
; COMPUTE_PGM_RSRC2:TGID_X_EN: 1
; COMPUTE_PGM_RSRC2:TGID_Y_EN: 0
; COMPUTE_PGM_RSRC2:TGID_Z_EN: 0
; COMPUTE_PGM_RSRC2:TIDIG_COMP_CNT: 0
	.section	.text._ZN7rocprim17ROCPRIM_304000_NS6detail20lookback_scan_kernelILNS1_25lookback_scan_determinismE0ELb0ENS1_19wrapped_scan_configINS0_14default_configEsEEPKsPsSt10multipliesIsEssNS1_19lookback_scan_stateIsLb1ELb1EEEEEvT2_T3_mT5_T4_T7_jPT6_SK_bb,"axG",@progbits,_ZN7rocprim17ROCPRIM_304000_NS6detail20lookback_scan_kernelILNS1_25lookback_scan_determinismE0ELb0ENS1_19wrapped_scan_configINS0_14default_configEsEEPKsPsSt10multipliesIsEssNS1_19lookback_scan_stateIsLb1ELb1EEEEEvT2_T3_mT5_T4_T7_jPT6_SK_bb,comdat
	.protected	_ZN7rocprim17ROCPRIM_304000_NS6detail20lookback_scan_kernelILNS1_25lookback_scan_determinismE0ELb0ENS1_19wrapped_scan_configINS0_14default_configEsEEPKsPsSt10multipliesIsEssNS1_19lookback_scan_stateIsLb1ELb1EEEEEvT2_T3_mT5_T4_T7_jPT6_SK_bb ; -- Begin function _ZN7rocprim17ROCPRIM_304000_NS6detail20lookback_scan_kernelILNS1_25lookback_scan_determinismE0ELb0ENS1_19wrapped_scan_configINS0_14default_configEsEEPKsPsSt10multipliesIsEssNS1_19lookback_scan_stateIsLb1ELb1EEEEEvT2_T3_mT5_T4_T7_jPT6_SK_bb
	.globl	_ZN7rocprim17ROCPRIM_304000_NS6detail20lookback_scan_kernelILNS1_25lookback_scan_determinismE0ELb0ENS1_19wrapped_scan_configINS0_14default_configEsEEPKsPsSt10multipliesIsEssNS1_19lookback_scan_stateIsLb1ELb1EEEEEvT2_T3_mT5_T4_T7_jPT6_SK_bb
	.p2align	8
	.type	_ZN7rocprim17ROCPRIM_304000_NS6detail20lookback_scan_kernelILNS1_25lookback_scan_determinismE0ELb0ENS1_19wrapped_scan_configINS0_14default_configEsEEPKsPsSt10multipliesIsEssNS1_19lookback_scan_stateIsLb1ELb1EEEEEvT2_T3_mT5_T4_T7_jPT6_SK_bb,@function
_ZN7rocprim17ROCPRIM_304000_NS6detail20lookback_scan_kernelILNS1_25lookback_scan_determinismE0ELb0ENS1_19wrapped_scan_configINS0_14default_configEsEEPKsPsSt10multipliesIsEssNS1_19lookback_scan_stateIsLb1ELb1EEEEEvT2_T3_mT5_T4_T7_jPT6_SK_bb: ; @_ZN7rocprim17ROCPRIM_304000_NS6detail20lookback_scan_kernelILNS1_25lookback_scan_determinismE0ELb0ENS1_19wrapped_scan_configINS0_14default_configEsEEPKsPsSt10multipliesIsEssNS1_19lookback_scan_stateIsLb1ELb1EEEEEvT2_T3_mT5_T4_T7_jPT6_SK_bb
; %bb.0:
	s_endpgm
	.section	.rodata,"a",@progbits
	.p2align	6, 0x0
	.amdhsa_kernel _ZN7rocprim17ROCPRIM_304000_NS6detail20lookback_scan_kernelILNS1_25lookback_scan_determinismE0ELb0ENS1_19wrapped_scan_configINS0_14default_configEsEEPKsPsSt10multipliesIsEssNS1_19lookback_scan_stateIsLb1ELb1EEEEEvT2_T3_mT5_T4_T7_jPT6_SK_bb
		.amdhsa_group_segment_fixed_size 0
		.amdhsa_private_segment_fixed_size 0
		.amdhsa_kernarg_size 68
		.amdhsa_user_sgpr_count 6
		.amdhsa_user_sgpr_private_segment_buffer 1
		.amdhsa_user_sgpr_dispatch_ptr 0
		.amdhsa_user_sgpr_queue_ptr 0
		.amdhsa_user_sgpr_kernarg_segment_ptr 1
		.amdhsa_user_sgpr_dispatch_id 0
		.amdhsa_user_sgpr_flat_scratch_init 0
		.amdhsa_user_sgpr_private_segment_size 0
		.amdhsa_uses_dynamic_stack 0
		.amdhsa_system_sgpr_private_segment_wavefront_offset 0
		.amdhsa_system_sgpr_workgroup_id_x 1
		.amdhsa_system_sgpr_workgroup_id_y 0
		.amdhsa_system_sgpr_workgroup_id_z 0
		.amdhsa_system_sgpr_workgroup_info 0
		.amdhsa_system_vgpr_workitem_id 0
		.amdhsa_next_free_vgpr 1
		.amdhsa_next_free_sgpr 0
		.amdhsa_reserve_vcc 0
		.amdhsa_reserve_flat_scratch 0
		.amdhsa_float_round_mode_32 0
		.amdhsa_float_round_mode_16_64 0
		.amdhsa_float_denorm_mode_32 3
		.amdhsa_float_denorm_mode_16_64 3
		.amdhsa_dx10_clamp 1
		.amdhsa_ieee_mode 1
		.amdhsa_fp16_overflow 0
		.amdhsa_exception_fp_ieee_invalid_op 0
		.amdhsa_exception_fp_denorm_src 0
		.amdhsa_exception_fp_ieee_div_zero 0
		.amdhsa_exception_fp_ieee_overflow 0
		.amdhsa_exception_fp_ieee_underflow 0
		.amdhsa_exception_fp_ieee_inexact 0
		.amdhsa_exception_int_div_zero 0
	.end_amdhsa_kernel
	.section	.text._ZN7rocprim17ROCPRIM_304000_NS6detail20lookback_scan_kernelILNS1_25lookback_scan_determinismE0ELb0ENS1_19wrapped_scan_configINS0_14default_configEsEEPKsPsSt10multipliesIsEssNS1_19lookback_scan_stateIsLb1ELb1EEEEEvT2_T3_mT5_T4_T7_jPT6_SK_bb,"axG",@progbits,_ZN7rocprim17ROCPRIM_304000_NS6detail20lookback_scan_kernelILNS1_25lookback_scan_determinismE0ELb0ENS1_19wrapped_scan_configINS0_14default_configEsEEPKsPsSt10multipliesIsEssNS1_19lookback_scan_stateIsLb1ELb1EEEEEvT2_T3_mT5_T4_T7_jPT6_SK_bb,comdat
.Lfunc_end38:
	.size	_ZN7rocprim17ROCPRIM_304000_NS6detail20lookback_scan_kernelILNS1_25lookback_scan_determinismE0ELb0ENS1_19wrapped_scan_configINS0_14default_configEsEEPKsPsSt10multipliesIsEssNS1_19lookback_scan_stateIsLb1ELb1EEEEEvT2_T3_mT5_T4_T7_jPT6_SK_bb, .Lfunc_end38-_ZN7rocprim17ROCPRIM_304000_NS6detail20lookback_scan_kernelILNS1_25lookback_scan_determinismE0ELb0ENS1_19wrapped_scan_configINS0_14default_configEsEEPKsPsSt10multipliesIsEssNS1_19lookback_scan_stateIsLb1ELb1EEEEEvT2_T3_mT5_T4_T7_jPT6_SK_bb
                                        ; -- End function
	.set _ZN7rocprim17ROCPRIM_304000_NS6detail20lookback_scan_kernelILNS1_25lookback_scan_determinismE0ELb0ENS1_19wrapped_scan_configINS0_14default_configEsEEPKsPsSt10multipliesIsEssNS1_19lookback_scan_stateIsLb1ELb1EEEEEvT2_T3_mT5_T4_T7_jPT6_SK_bb.num_vgpr, 0
	.set _ZN7rocprim17ROCPRIM_304000_NS6detail20lookback_scan_kernelILNS1_25lookback_scan_determinismE0ELb0ENS1_19wrapped_scan_configINS0_14default_configEsEEPKsPsSt10multipliesIsEssNS1_19lookback_scan_stateIsLb1ELb1EEEEEvT2_T3_mT5_T4_T7_jPT6_SK_bb.num_agpr, 0
	.set _ZN7rocprim17ROCPRIM_304000_NS6detail20lookback_scan_kernelILNS1_25lookback_scan_determinismE0ELb0ENS1_19wrapped_scan_configINS0_14default_configEsEEPKsPsSt10multipliesIsEssNS1_19lookback_scan_stateIsLb1ELb1EEEEEvT2_T3_mT5_T4_T7_jPT6_SK_bb.numbered_sgpr, 0
	.set _ZN7rocprim17ROCPRIM_304000_NS6detail20lookback_scan_kernelILNS1_25lookback_scan_determinismE0ELb0ENS1_19wrapped_scan_configINS0_14default_configEsEEPKsPsSt10multipliesIsEssNS1_19lookback_scan_stateIsLb1ELb1EEEEEvT2_T3_mT5_T4_T7_jPT6_SK_bb.num_named_barrier, 0
	.set _ZN7rocprim17ROCPRIM_304000_NS6detail20lookback_scan_kernelILNS1_25lookback_scan_determinismE0ELb0ENS1_19wrapped_scan_configINS0_14default_configEsEEPKsPsSt10multipliesIsEssNS1_19lookback_scan_stateIsLb1ELb1EEEEEvT2_T3_mT5_T4_T7_jPT6_SK_bb.private_seg_size, 0
	.set _ZN7rocprim17ROCPRIM_304000_NS6detail20lookback_scan_kernelILNS1_25lookback_scan_determinismE0ELb0ENS1_19wrapped_scan_configINS0_14default_configEsEEPKsPsSt10multipliesIsEssNS1_19lookback_scan_stateIsLb1ELb1EEEEEvT2_T3_mT5_T4_T7_jPT6_SK_bb.uses_vcc, 0
	.set _ZN7rocprim17ROCPRIM_304000_NS6detail20lookback_scan_kernelILNS1_25lookback_scan_determinismE0ELb0ENS1_19wrapped_scan_configINS0_14default_configEsEEPKsPsSt10multipliesIsEssNS1_19lookback_scan_stateIsLb1ELb1EEEEEvT2_T3_mT5_T4_T7_jPT6_SK_bb.uses_flat_scratch, 0
	.set _ZN7rocprim17ROCPRIM_304000_NS6detail20lookback_scan_kernelILNS1_25lookback_scan_determinismE0ELb0ENS1_19wrapped_scan_configINS0_14default_configEsEEPKsPsSt10multipliesIsEssNS1_19lookback_scan_stateIsLb1ELb1EEEEEvT2_T3_mT5_T4_T7_jPT6_SK_bb.has_dyn_sized_stack, 0
	.set _ZN7rocprim17ROCPRIM_304000_NS6detail20lookback_scan_kernelILNS1_25lookback_scan_determinismE0ELb0ENS1_19wrapped_scan_configINS0_14default_configEsEEPKsPsSt10multipliesIsEssNS1_19lookback_scan_stateIsLb1ELb1EEEEEvT2_T3_mT5_T4_T7_jPT6_SK_bb.has_recursion, 0
	.set _ZN7rocprim17ROCPRIM_304000_NS6detail20lookback_scan_kernelILNS1_25lookback_scan_determinismE0ELb0ENS1_19wrapped_scan_configINS0_14default_configEsEEPKsPsSt10multipliesIsEssNS1_19lookback_scan_stateIsLb1ELb1EEEEEvT2_T3_mT5_T4_T7_jPT6_SK_bb.has_indirect_call, 0
	.section	.AMDGPU.csdata,"",@progbits
; Kernel info:
; codeLenInByte = 4
; TotalNumSgprs: 4
; NumVgprs: 0
; ScratchSize: 0
; MemoryBound: 0
; FloatMode: 240
; IeeeMode: 1
; LDSByteSize: 0 bytes/workgroup (compile time only)
; SGPRBlocks: 0
; VGPRBlocks: 0
; NumSGPRsForWavesPerEU: 4
; NumVGPRsForWavesPerEU: 1
; Occupancy: 10
; WaveLimiterHint : 0
; COMPUTE_PGM_RSRC2:SCRATCH_EN: 0
; COMPUTE_PGM_RSRC2:USER_SGPR: 6
; COMPUTE_PGM_RSRC2:TRAP_HANDLER: 0
; COMPUTE_PGM_RSRC2:TGID_X_EN: 1
; COMPUTE_PGM_RSRC2:TGID_Y_EN: 0
; COMPUTE_PGM_RSRC2:TGID_Z_EN: 0
; COMPUTE_PGM_RSRC2:TIDIG_COMP_CNT: 0
	.section	.text._ZN7rocprim17ROCPRIM_304000_NS6detail20lookback_scan_kernelILNS1_25lookback_scan_determinismE0ELb0ENS1_19wrapped_scan_configINS0_14default_configEsEEPKsPsSt10multipliesIsEssNS1_19lookback_scan_stateIsLb0ELb1EEEEEvT2_T3_mT5_T4_T7_jPT6_SK_bb,"axG",@progbits,_ZN7rocprim17ROCPRIM_304000_NS6detail20lookback_scan_kernelILNS1_25lookback_scan_determinismE0ELb0ENS1_19wrapped_scan_configINS0_14default_configEsEEPKsPsSt10multipliesIsEssNS1_19lookback_scan_stateIsLb0ELb1EEEEEvT2_T3_mT5_T4_T7_jPT6_SK_bb,comdat
	.protected	_ZN7rocprim17ROCPRIM_304000_NS6detail20lookback_scan_kernelILNS1_25lookback_scan_determinismE0ELb0ENS1_19wrapped_scan_configINS0_14default_configEsEEPKsPsSt10multipliesIsEssNS1_19lookback_scan_stateIsLb0ELb1EEEEEvT2_T3_mT5_T4_T7_jPT6_SK_bb ; -- Begin function _ZN7rocprim17ROCPRIM_304000_NS6detail20lookback_scan_kernelILNS1_25lookback_scan_determinismE0ELb0ENS1_19wrapped_scan_configINS0_14default_configEsEEPKsPsSt10multipliesIsEssNS1_19lookback_scan_stateIsLb0ELb1EEEEEvT2_T3_mT5_T4_T7_jPT6_SK_bb
	.globl	_ZN7rocprim17ROCPRIM_304000_NS6detail20lookback_scan_kernelILNS1_25lookback_scan_determinismE0ELb0ENS1_19wrapped_scan_configINS0_14default_configEsEEPKsPsSt10multipliesIsEssNS1_19lookback_scan_stateIsLb0ELb1EEEEEvT2_T3_mT5_T4_T7_jPT6_SK_bb
	.p2align	8
	.type	_ZN7rocprim17ROCPRIM_304000_NS6detail20lookback_scan_kernelILNS1_25lookback_scan_determinismE0ELb0ENS1_19wrapped_scan_configINS0_14default_configEsEEPKsPsSt10multipliesIsEssNS1_19lookback_scan_stateIsLb0ELb1EEEEEvT2_T3_mT5_T4_T7_jPT6_SK_bb,@function
_ZN7rocprim17ROCPRIM_304000_NS6detail20lookback_scan_kernelILNS1_25lookback_scan_determinismE0ELb0ENS1_19wrapped_scan_configINS0_14default_configEsEEPKsPsSt10multipliesIsEssNS1_19lookback_scan_stateIsLb0ELb1EEEEEvT2_T3_mT5_T4_T7_jPT6_SK_bb: ; @_ZN7rocprim17ROCPRIM_304000_NS6detail20lookback_scan_kernelILNS1_25lookback_scan_determinismE0ELb0ENS1_19wrapped_scan_configINS0_14default_configEsEEPKsPsSt10multipliesIsEssNS1_19lookback_scan_stateIsLb0ELb1EEEEEvT2_T3_mT5_T4_T7_jPT6_SK_bb
; %bb.0:
	s_load_dword s3, s[4:5], 0x28
	s_load_dwordx4 s[12:15], s[4:5], 0x0
	s_load_dwordx2 s[0:1], s[4:5], 0x10
	s_mul_i32 s2, s6, 0x1800
	v_lshlrev_b32_e32 v29, 1, v0
	s_waitcnt lgkmcnt(0)
	s_add_i32 s7, s3, -1
	s_mul_i32 s8, s7, 0x1800
	s_sub_u32 s24, s0, s8
	s_subb_u32 s25, s1, 0
	s_mov_b32 s3, 0
	s_cmp_lg_u32 s6, s7
	s_cselect_b64 s[16:17], -1, 0
	s_lshl_b64 s[18:19], s[2:3], 1
	s_add_u32 s2, s12, s18
	s_addc_u32 s3, s13, s19
	s_mov_b64 s[0:1], -1
	s_and_b64 vcc, exec, s[16:17]
	s_cbranch_vccz .LBB39_2
; %bb.1:
	v_mov_b32_e32 v1, s3
	v_add_co_u32_e32 v3, vcc, s2, v29
	v_addc_co_u32_e32 v4, vcc, 0, v1, vcc
	v_add_co_u32_e32 v1, vcc, 0x1000, v3
	v_addc_co_u32_e32 v2, vcc, 0, v4, vcc
	global_load_ushort v5, v29, s[2:3]
	global_load_ushort v6, v29, s[2:3] offset:512
	global_load_ushort v7, v29, s[2:3] offset:1024
	;; [unrolled: 1-line block ×7, first 2 shown]
	global_load_ushort v13, v[1:2], off
	global_load_ushort v14, v[1:2], off offset:512
	global_load_ushort v15, v[1:2], off offset:1024
	;; [unrolled: 1-line block ×7, first 2 shown]
	v_add_co_u32_e32 v1, vcc, 0x2000, v3
	v_addc_co_u32_e32 v2, vcc, 0, v4, vcc
	global_load_ushort v3, v[1:2], off
	global_load_ushort v4, v[1:2], off offset:512
	global_load_ushort v21, v[1:2], off offset:1024
	;; [unrolled: 1-line block ×7, first 2 shown]
	s_mov_b64 s[0:1], 0
	s_waitcnt vmcnt(23)
	ds_write_b16 v29, v5
	s_waitcnt vmcnt(22)
	ds_write_b16 v29, v6 offset:512
	s_waitcnt vmcnt(21)
	ds_write_b16 v29, v7 offset:1024
	;; [unrolled: 2-line block ×23, first 2 shown]
	s_waitcnt lgkmcnt(0)
	s_barrier
.LBB39_2:
	s_andn2_b64 vcc, exec, s[0:1]
	v_cmp_gt_u32_e64 s[0:1], s24, v0
	s_cbranch_vccnz .LBB39_52
; %bb.3:
	v_mov_b32_e32 v1, 0
	global_load_ushort v19, v1, s[2:3]
	v_mov_b32_e32 v13, s3
	v_add_co_u32_e32 v17, vcc, s2, v29
	v_addc_co_u32_e32 v18, vcc, 0, v13, vcc
	s_waitcnt vmcnt(0)
	v_and_b32_e32 v1, 0xffff, v19
	v_lshl_or_b32 v1, v19, 16, v1
	v_mov_b32_e32 v2, v1
	v_mov_b32_e32 v3, v1
	;; [unrolled: 1-line block ×11, first 2 shown]
	s_and_saveexec_b64 s[2:3], s[0:1]
	s_cbranch_execz .LBB39_5
; %bb.4:
	global_load_ushort v19, v[17:18], off
	s_mov_b32 s0, 0xffff
	v_mov_b32_e32 v3, v1
	v_mov_b32_e32 v4, v1
	;; [unrolled: 1-line block ×11, first 2 shown]
	s_waitcnt vmcnt(0)
	v_bfi_b32 v2, s0, v19, v1
	v_mov_b32_e32 v1, v2
	v_mov_b32_e32 v2, v3
	;; [unrolled: 1-line block ×16, first 2 shown]
.LBB39_5:
	s_or_b64 exec, exec, s[2:3]
	v_or_b32_e32 v13, 0x100, v0
	v_cmp_gt_u32_e32 vcc, s24, v13
	s_and_saveexec_b64 s[0:1], vcc
	s_cbranch_execz .LBB39_7
; %bb.6:
	global_load_ushort v13, v[17:18], off offset:512
	s_mov_b32 s2, 0x5040100
	s_waitcnt vmcnt(0)
	v_perm_b32 v1, v13, v1, s2
.LBB39_7:
	s_or_b64 exec, exec, s[0:1]
	v_or_b32_e32 v13, 0x200, v0
	v_cmp_gt_u32_e32 vcc, s24, v13
	s_and_saveexec_b64 s[0:1], vcc
	s_cbranch_execz .LBB39_9
; %bb.8:
	global_load_ushort v13, v[17:18], off offset:1024
	s_mov_b32 s2, 0xffff
	s_waitcnt vmcnt(0)
	v_bfi_b32 v2, s2, v13, v2
.LBB39_9:
	s_or_b64 exec, exec, s[0:1]
	v_or_b32_e32 v13, 0x300, v0
	v_cmp_gt_u32_e32 vcc, s24, v13
	s_and_saveexec_b64 s[0:1], vcc
	s_cbranch_execz .LBB39_11
; %bb.10:
	global_load_ushort v13, v[17:18], off offset:1536
	s_mov_b32 s2, 0x5040100
	s_waitcnt vmcnt(0)
	v_perm_b32 v2, v13, v2, s2
.LBB39_11:
	s_or_b64 exec, exec, s[0:1]
	v_or_b32_e32 v13, 0x400, v0
	v_cmp_gt_u32_e32 vcc, s24, v13
	s_and_saveexec_b64 s[0:1], vcc
	s_cbranch_execz .LBB39_13
; %bb.12:
	global_load_ushort v13, v[17:18], off offset:2048
	s_mov_b32 s2, 0xffff
	s_waitcnt vmcnt(0)
	v_bfi_b32 v3, s2, v13, v3
.LBB39_13:
	;; [unrolled: 22-line block ×3, first 2 shown]
	s_or_b64 exec, exec, s[0:1]
	v_or_b32_e32 v13, 0x700, v0
	v_cmp_gt_u32_e32 vcc, s24, v13
	s_and_saveexec_b64 s[0:1], vcc
	s_cbranch_execz .LBB39_19
; %bb.18:
	global_load_ushort v13, v[17:18], off offset:3584
	s_mov_b32 s2, 0x5040100
	s_waitcnt vmcnt(0)
	v_perm_b32 v4, v13, v4, s2
.LBB39_19:
	s_or_b64 exec, exec, s[0:1]
	v_or_b32_e32 v13, 0x800, v0
	v_cmp_gt_u32_e32 vcc, s24, v13
	s_and_saveexec_b64 s[0:1], vcc
	s_cbranch_execz .LBB39_21
; %bb.20:
	v_add_co_u32_e32 v13, vcc, 0x1000, v17
	v_addc_co_u32_e32 v14, vcc, 0, v18, vcc
	global_load_ushort v13, v[13:14], off
	s_mov_b32 s2, 0xffff
	s_waitcnt vmcnt(0)
	v_bfi_b32 v5, s2, v13, v5
.LBB39_21:
	s_or_b64 exec, exec, s[0:1]
	v_or_b32_e32 v13, 0x900, v0
	v_cmp_gt_u32_e32 vcc, s24, v13
	s_and_saveexec_b64 s[0:1], vcc
	s_cbranch_execz .LBB39_23
; %bb.22:
	v_add_co_u32_e32 v13, vcc, 0x1000, v17
	v_addc_co_u32_e32 v14, vcc, 0, v18, vcc
	global_load_ushort v13, v[13:14], off offset:512
	s_mov_b32 s2, 0x5040100
	s_waitcnt vmcnt(0)
	v_perm_b32 v5, v13, v5, s2
.LBB39_23:
	s_or_b64 exec, exec, s[0:1]
	v_or_b32_e32 v13, 0xa00, v0
	v_cmp_gt_u32_e32 vcc, s24, v13
	s_and_saveexec_b64 s[0:1], vcc
	s_cbranch_execz .LBB39_25
; %bb.24:
	v_add_co_u32_e32 v13, vcc, 0x1000, v17
	v_addc_co_u32_e32 v14, vcc, 0, v18, vcc
	global_load_ushort v13, v[13:14], off offset:1024
	s_mov_b32 s2, 0xffff
	s_waitcnt vmcnt(0)
	v_bfi_b32 v6, s2, v13, v6
.LBB39_25:
	s_or_b64 exec, exec, s[0:1]
	v_or_b32_e32 v13, 0xb00, v0
	v_cmp_gt_u32_e32 vcc, s24, v13
	s_and_saveexec_b64 s[0:1], vcc
	s_cbranch_execz .LBB39_27
; %bb.26:
	v_add_co_u32_e32 v13, vcc, 0x1000, v17
	v_addc_co_u32_e32 v14, vcc, 0, v18, vcc
	global_load_ushort v13, v[13:14], off offset:1536
	s_mov_b32 s2, 0x5040100
	s_waitcnt vmcnt(0)
	v_perm_b32 v6, v13, v6, s2
.LBB39_27:
	s_or_b64 exec, exec, s[0:1]
	v_or_b32_e32 v13, 0xc00, v0
	v_cmp_gt_u32_e32 vcc, s24, v13
	s_and_saveexec_b64 s[0:1], vcc
	s_cbranch_execz .LBB39_29
; %bb.28:
	v_add_co_u32_e32 v13, vcc, 0x1000, v17
	v_addc_co_u32_e32 v14, vcc, 0, v18, vcc
	global_load_ushort v13, v[13:14], off offset:2048
	s_mov_b32 s2, 0xffff
	s_waitcnt vmcnt(0)
	v_bfi_b32 v7, s2, v13, v7
.LBB39_29:
	;; [unrolled: 26-line block ×3, first 2 shown]
	s_or_b64 exec, exec, s[0:1]
	v_or_b32_e32 v13, 0xf00, v0
	v_cmp_gt_u32_e32 vcc, s24, v13
	s_and_saveexec_b64 s[0:1], vcc
	s_cbranch_execz .LBB39_35
; %bb.34:
	v_add_co_u32_e32 v13, vcc, 0x1000, v17
	v_addc_co_u32_e32 v14, vcc, 0, v18, vcc
	global_load_ushort v13, v[13:14], off offset:3584
	s_mov_b32 s2, 0x5040100
	s_waitcnt vmcnt(0)
	v_perm_b32 v8, v13, v8, s2
.LBB39_35:
	s_or_b64 exec, exec, s[0:1]
	v_or_b32_e32 v13, 0x1000, v0
	v_cmp_gt_u32_e32 vcc, s24, v13
	s_and_saveexec_b64 s[0:1], vcc
	s_cbranch_execz .LBB39_37
; %bb.36:
	v_add_co_u32_e32 v13, vcc, 0x2000, v17
	v_addc_co_u32_e32 v14, vcc, 0, v18, vcc
	global_load_ushort v13, v[13:14], off
	s_mov_b32 s2, 0xffff
	s_waitcnt vmcnt(0)
	v_bfi_b32 v9, s2, v13, v9
.LBB39_37:
	s_or_b64 exec, exec, s[0:1]
	v_or_b32_e32 v13, 0x1100, v0
	v_cmp_gt_u32_e32 vcc, s24, v13
	s_and_saveexec_b64 s[0:1], vcc
	s_cbranch_execz .LBB39_39
; %bb.38:
	v_add_co_u32_e32 v13, vcc, 0x2000, v17
	v_addc_co_u32_e32 v14, vcc, 0, v18, vcc
	global_load_ushort v13, v[13:14], off offset:512
	s_mov_b32 s2, 0x5040100
	s_waitcnt vmcnt(0)
	v_perm_b32 v9, v13, v9, s2
.LBB39_39:
	s_or_b64 exec, exec, s[0:1]
	v_or_b32_e32 v13, 0x1200, v0
	v_cmp_gt_u32_e32 vcc, s24, v13
	s_and_saveexec_b64 s[0:1], vcc
	s_cbranch_execz .LBB39_41
; %bb.40:
	v_add_co_u32_e32 v13, vcc, 0x2000, v17
	v_addc_co_u32_e32 v14, vcc, 0, v18, vcc
	global_load_ushort v13, v[13:14], off offset:1024
	s_mov_b32 s2, 0xffff
	s_waitcnt vmcnt(0)
	v_bfi_b32 v10, s2, v13, v10
.LBB39_41:
	s_or_b64 exec, exec, s[0:1]
	v_or_b32_e32 v13, 0x1300, v0
	v_cmp_gt_u32_e32 vcc, s24, v13
	s_and_saveexec_b64 s[0:1], vcc
	s_cbranch_execz .LBB39_43
; %bb.42:
	v_add_co_u32_e32 v13, vcc, 0x2000, v17
	v_addc_co_u32_e32 v14, vcc, 0, v18, vcc
	global_load_ushort v13, v[13:14], off offset:1536
	s_mov_b32 s2, 0x5040100
	s_waitcnt vmcnt(0)
	v_perm_b32 v10, v13, v10, s2
.LBB39_43:
	s_or_b64 exec, exec, s[0:1]
	v_or_b32_e32 v13, 0x1400, v0
	v_cmp_gt_u32_e32 vcc, s24, v13
	s_and_saveexec_b64 s[0:1], vcc
	s_cbranch_execz .LBB39_45
; %bb.44:
	v_add_co_u32_e32 v13, vcc, 0x2000, v17
	v_addc_co_u32_e32 v14, vcc, 0, v18, vcc
	global_load_ushort v13, v[13:14], off offset:2048
	s_mov_b32 s2, 0xffff
	s_waitcnt vmcnt(0)
	v_bfi_b32 v11, s2, v13, v11
.LBB39_45:
	;; [unrolled: 26-line block ×3, first 2 shown]
	s_or_b64 exec, exec, s[0:1]
	v_or_b32_e32 v13, 0x1700, v0
	v_cmp_gt_u32_e32 vcc, s24, v13
	s_and_saveexec_b64 s[0:1], vcc
	s_cbranch_execz .LBB39_51
; %bb.50:
	v_add_co_u32_e32 v13, vcc, 0x2000, v17
	v_addc_co_u32_e32 v14, vcc, 0, v18, vcc
	global_load_ushort v13, v[13:14], off offset:3584
	s_mov_b32 s2, 0x5040100
	s_waitcnt vmcnt(0)
	v_perm_b32 v12, v13, v12, s2
.LBB39_51:
	s_or_b64 exec, exec, s[0:1]
	ds_write_b16 v29, v19
	ds_write_b16_d16_hi v29, v1 offset:512
	ds_write_b16 v29, v2 offset:1024
	ds_write_b16_d16_hi v29, v2 offset:1536
	ds_write_b16 v29, v3 offset:2048
	;; [unrolled: 2-line block ×11, first 2 shown]
	ds_write_b16_d16_hi v29, v12 offset:11776
	s_waitcnt lgkmcnt(0)
	s_barrier
.LBB39_52:
	v_mul_u32_u24_e32 v30, 48, v0
	ds_read_b128 v[17:20], v30
	ds_read_b128 v[25:28], v30 offset:16
	ds_read_b128 v[21:24], v30 offset:32
	s_load_dwordx2 s[20:21], s[4:5], 0x20
	s_cmp_lg_u32 s6, 0
	v_lshrrev_b32_e32 v31, 4, v0
	v_cmp_gt_u32_e32 vcc, 64, v0
	s_waitcnt lgkmcnt(0)
	s_barrier
	s_cbranch_scc0 .LBB39_72
; %bb.53:
	v_alignbit_b32 v1, s0, v17, 16
	v_pk_mul_lo_u16 v1, v1, v17
	v_pk_mul_lo_u16 v1, v1, v18
	v_alignbit_b32 v2, s0, v18, 16
	v_pk_mul_lo_u16 v1, v1, v2
	v_pk_mul_lo_u16 v1, v1, v19
	v_alignbit_b32 v2, s0, v19, 16
	v_pk_mul_lo_u16 v1, v1, v2
	v_pk_mul_lo_u16 v1, v1, v20
	v_alignbit_b32 v2, s0, v20, 16
	v_pk_mul_lo_u16 v1, v1, v2
	v_pk_mul_lo_u16 v1, v1, v25
	v_alignbit_b32 v2, s0, v25, 16
	v_pk_mul_lo_u16 v1, v1, v2
	v_pk_mul_lo_u16 v1, v1, v26
	v_alignbit_b32 v2, s0, v26, 16
	v_pk_mul_lo_u16 v1, v1, v2
	v_pk_mul_lo_u16 v1, v1, v27
	v_alignbit_b32 v2, s0, v27, 16
	v_pk_mul_lo_u16 v1, v1, v2
	v_pk_mul_lo_u16 v1, v1, v28
	v_alignbit_b32 v2, s0, v28, 16
	v_pk_mul_lo_u16 v1, v1, v2
	v_pk_mul_lo_u16 v1, v1, v21
	v_alignbit_b32 v2, s0, v21, 16
	v_pk_mul_lo_u16 v1, v1, v2
	v_pk_mul_lo_u16 v1, v1, v22
	v_alignbit_b32 v2, s0, v22, 16
	v_pk_mul_lo_u16 v1, v1, v2
	v_pk_mul_lo_u16 v1, v1, v23
	v_alignbit_b32 v2, s0, v23, 16
	v_pk_mul_lo_u16 v1, v1, v2
	v_pk_mul_lo_u16 v1, v1, v24
	v_alignbit_b32 v2, s0, v24, 16
	v_pk_mul_lo_u16 v1, v1, v2
	v_and_b32_e32 v2, 14, v31
	v_lshl_add_u32 v2, v0, 1, v2
	ds_write_b16 v2, v1
	s_waitcnt lgkmcnt(0)
	s_barrier
	s_and_saveexec_b64 s[2:3], vcc
	s_cbranch_execz .LBB39_55
; %bb.54:
	v_lshrrev_b32_e32 v2, 2, v0
	v_and_b32_e32 v2, 62, v2
	v_lshl_add_u32 v4, v0, 3, v2
	ds_read_b64 v[2:3], v4
	v_mbcnt_lo_u32_b32 v5, -1, 0
	v_mbcnt_hi_u32_b32 v5, -1, v5
	v_and_b32_e32 v6, 15, v5
	v_cmp_eq_u32_e64 s[0:1], 0, v6
	s_waitcnt lgkmcnt(0)
	v_mul_lo_u16_sdwa v7, v2, v2 dst_sel:DWORD dst_unused:UNUSED_PAD src0_sel:WORD_1 src1_sel:DWORD
	v_mul_lo_u16_e32 v7, v7, v3
	v_mul_lo_u16_sdwa v7, v7, v3 dst_sel:DWORD dst_unused:UNUSED_PAD src0_sel:DWORD src1_sel:WORD_1
	v_and_b32_e32 v9, 64, v5
	s_nop 0
	v_mov_b32_dpp v8, v7 row_shr:1 row_mask:0xf bank_mask:0xf
	v_mul_lo_u16_e32 v8, v7, v8
	v_cndmask_b32_e64 v7, v8, v7, s[0:1]
	v_cmp_lt_u32_e64 s[0:1], 1, v6
	s_nop 0
	v_mov_b32_dpp v8, v7 row_shr:2 row_mask:0xf bank_mask:0xf
	v_mul_lo_u16_e32 v8, v7, v8
	v_cndmask_b32_e64 v7, v7, v8, s[0:1]
	v_cmp_lt_u32_e64 s[0:1], 3, v6
	;; [unrolled: 5-line block ×3, first 2 shown]
	s_nop 0
	v_mov_b32_dpp v8, v7 row_shr:8 row_mask:0xf bank_mask:0xf
	v_mul_lo_u16_e32 v8, v7, v8
	v_cndmask_b32_e64 v6, v7, v8, s[0:1]
	v_and_b32_e32 v8, 16, v5
	v_cmp_eq_u32_e64 s[0:1], 0, v8
	v_mov_b32_dpp v7, v6 row_bcast:15 row_mask:0xf bank_mask:0xf
	v_mul_lo_u16_e32 v7, v6, v7
	v_cndmask_b32_e64 v6, v7, v6, s[0:1]
	v_cmp_lt_u32_e64 s[0:1], 31, v5
	v_add_u32_e32 v8, -1, v5
	v_mov_b32_dpp v7, v6 row_bcast:31 row_mask:0xf bank_mask:0xf
	v_cndmask_b32_e64 v7, 1, v7, s[0:1]
	v_cmp_lt_i32_e64 s[0:1], v8, v9
	v_cndmask_b32_e64 v5, v8, v5, s[0:1]
	v_lshlrev_b32_e32 v5, 2, v5
	v_mul_lo_u16_e32 v6, v6, v7
	ds_bpermute_b32 v5, v5, v6
	v_cmp_eq_u32_e64 s[0:1], 0, v0
	s_waitcnt lgkmcnt(0)
	v_mul_lo_u16_e32 v5, v2, v5
	v_cndmask_b32_e64 v1, v5, v1, s[0:1]
	v_mul_lo_u16_sdwa v2, v1, v2 dst_sel:DWORD dst_unused:UNUSED_PAD src0_sel:DWORD src1_sel:WORD_1
	v_mul_lo_u16_e32 v5, v2, v3
	v_mul_lo_u16_sdwa v3, v5, v3 dst_sel:DWORD dst_unused:UNUSED_PAD src0_sel:DWORD src1_sel:WORD_1
	s_mov_b32 s0, 0x5040100
	v_perm_b32 v1, v2, v1, s0
	v_perm_b32 v2, v3, v5, s0
	ds_write_b64 v4, v[1:2]
.LBB39_55:
	s_or_b64 exec, exec, s[2:3]
	v_cmp_eq_u32_e64 s[0:1], 0, v0
	v_cmp_ne_u32_e64 s[2:3], 0, v0
	v_mov_b32_e32 v7, 1
	s_waitcnt lgkmcnt(0)
	s_barrier
	s_and_saveexec_b64 s[8:9], s[2:3]
; %bb.56:
	v_add_u32_e32 v1, -1, v0
	v_lshrrev_b32_e32 v2, 4, v1
	v_and_b32_e32 v2, 0xffffffe, v2
	v_lshl_add_u32 v1, v1, 1, v2
	ds_read_u16 v7, v1
; %bb.57:
	s_or_b64 exec, exec, s[8:9]
	s_and_saveexec_b64 s[22:23], vcc
	s_cbranch_execz .LBB39_77
; %bb.58:
	v_mov_b32_e32 v3, 0
	ds_read_u16 v8, v3 offset:524
	v_mbcnt_lo_u32_b32 v1, -1, 0
	v_mbcnt_hi_u32_b32 v6, -1, v1
	s_mov_b32 s11, 0
	v_cmp_eq_u32_e64 s[2:3], 0, v6
	s_and_saveexec_b64 s[8:9], s[2:3]
	s_cbranch_execz .LBB39_60
; %bb.59:
	s_add_i32 s10, s6, 64
	s_lshl_b64 s[10:11], s[10:11], 2
	s_add_u32 s10, s20, s10
	s_waitcnt lgkmcnt(0)
	v_or_b32_e32 v1, 0x10000, v8
	s_addc_u32 s11, s21, s11
	global_store_dword v3, v1, s[10:11]
.LBB39_60:
	s_or_b64 exec, exec, s[8:9]
	v_xad_u32 v1, v6, -1, s6
	v_add_u32_e32 v2, 64, v1
	v_lshlrev_b64 v[4:5], 2, v[2:3]
	v_mov_b32_e32 v2, s21
	v_add_co_u32_e32 v4, vcc, s20, v4
	v_addc_co_u32_e32 v5, vcc, v2, v5, vcc
	global_load_dword v2, v[4:5], off glc
	s_waitcnt vmcnt(0)
	v_lshrrev_b32_e32 v9, 16, v2
	v_cmp_eq_u16_sdwa s[10:11], v9, v3 src0_sel:BYTE_0 src1_sel:DWORD
	s_and_saveexec_b64 s[8:9], s[10:11]
	s_cbranch_execz .LBB39_64
; %bb.61:
	s_mov_b64 s[10:11], 0
	v_mov_b32_e32 v3, 0
.LBB39_62:                              ; =>This Inner Loop Header: Depth=1
	global_load_dword v2, v[4:5], off glc
	s_waitcnt vmcnt(0)
	v_lshrrev_b32_e32 v9, 16, v2
	v_cmp_ne_u16_sdwa s[12:13], v9, v3 src0_sel:BYTE_0 src1_sel:DWORD
	s_or_b64 s[10:11], s[12:13], s[10:11]
	s_andn2_b64 exec, exec, s[10:11]
	s_cbranch_execnz .LBB39_62
; %bb.63:
	s_or_b64 exec, exec, s[10:11]
.LBB39_64:
	s_or_b64 exec, exec, s[8:9]
	v_and_b32_e32 v34, 63, v6
	v_cmp_ne_u32_e32 vcc, 63, v34
	v_mov_b32_e32 v10, 2
	v_lshlrev_b64 v[3:4], v6, -1
	v_addc_co_u32_e32 v11, vcc, 0, v6, vcc
	v_cmp_eq_u16_sdwa s[8:9], v9, v10 src0_sel:BYTE_0 src1_sel:DWORD
	v_lshlrev_b32_e32 v11, 2, v11
	v_and_b32_e32 v13, 0xffff, v2
	v_and_b32_e32 v5, s9, v4
	ds_bpermute_b32 v14, v11, v13
	v_or_b32_e32 v5, 0x80000000, v5
	v_and_b32_e32 v12, s8, v3
	v_ffbl_b32_e32 v5, v5
	v_add_u32_e32 v5, 32, v5
	v_ffbl_b32_e32 v12, v12
	v_min_u32_e32 v5, v12, v5
	v_add_u32_e32 v12, 1, v6
	s_waitcnt lgkmcnt(0)
	v_mul_lo_u16_e32 v14, v14, v2
	v_cmp_le_u32_e32 vcc, v12, v5
	v_cmp_gt_u32_e64 s[8:9], 62, v34
	v_cndmask_b32_e32 v15, v13, v14, vcc
	v_cndmask_b32_e64 v13, 0, 2, s[8:9]
	v_add_lshl_u32 v13, v13, v6, 2
	ds_bpermute_b32 v16, v13, v15
	v_cndmask_b32_e32 v32, v2, v14, vcc
	v_add_u32_e32 v14, 2, v6
	v_cmp_le_u32_e64 s[8:9], v14, v5
	v_cmp_gt_u32_e64 s[10:11], 60, v34
	s_waitcnt lgkmcnt(0)
	v_mul_lo_u16_e32 v16, v32, v16
	v_cndmask_b32_e64 v33, v15, v16, s[8:9]
	v_cndmask_b32_e64 v15, 0, 4, s[10:11]
	v_add_lshl_u32 v15, v15, v6, 2
	ds_bpermute_b32 v35, v15, v33
	v_cndmask_b32_e64 v36, v32, v16, s[8:9]
	v_add_u32_e32 v16, 4, v6
	v_cmp_gt_u32_e64 s[12:13], 56, v34
	v_cmp_le_u32_e64 s[10:11], v16, v5
	s_waitcnt lgkmcnt(0)
	v_mul_lo_u16_e32 v35, v36, v35
	v_cndmask_b32_e64 v32, 0, 8, s[12:13]
	v_cndmask_b32_e64 v37, v33, v35, s[10:11]
	v_add_lshl_u32 v32, v32, v6, 2
	ds_bpermute_b32 v38, v32, v37
	s_or_b64 s[12:13], vcc, s[8:9]
	v_cndmask_b32_e64 v35, v36, v35, s[10:11]
	v_add_u32_e32 v33, 8, v6
	v_cmp_gt_u32_e64 s[8:9], 48, v34
	s_waitcnt lgkmcnt(0)
	v_mul_lo_u16_e32 v36, v35, v38
	v_cmp_le_u32_e32 vcc, v33, v5
	v_cndmask_b32_e64 v34, 0, 16, s[8:9]
	v_cndmask_b32_e32 v37, v37, v36, vcc
	v_add_lshl_u32 v34, v34, v6, 2
	ds_bpermute_b32 v38, v34, v37
	s_or_b64 s[8:9], s[10:11], s[12:13]
	v_cndmask_b32_e32 v35, v35, v36, vcc
	v_add_u32_e32 v36, 16, v6
	s_or_b64 s[8:9], vcc, s[8:9]
	s_waitcnt lgkmcnt(0)
	v_mul_lo_u16_e32 v39, v35, v38
	v_cmp_le_u32_e32 vcc, v36, v5
	v_cndmask_b32_e32 v38, v37, v39, vcc
	v_mov_b32_e32 v37, 0x80
	v_lshl_or_b32 v37, v6, 2, v37
	ds_bpermute_b32 v40, v37, v38
	v_add_u32_e32 v38, 32, v6
	s_or_b64 s[8:9], vcc, s[8:9]
	v_cndmask_b32_e32 v6, v35, v39, vcc
	v_cmp_le_u32_e32 vcc, v38, v5
	s_waitcnt lgkmcnt(0)
	v_cndmask_b32_e32 v5, 1, v40, vcc
	v_mul_lo_u16_e32 v5, v6, v5
	s_or_b64 vcc, vcc, s[8:9]
	v_cndmask_b32_e32 v5, v2, v5, vcc
	v_mov_b32_e32 v2, 0
	s_branch .LBB39_68
.LBB39_65:                              ;   in Loop: Header=BB39_68 Depth=1
	s_or_b64 exec, exec, s[10:11]
.LBB39_66:                              ;   in Loop: Header=BB39_68 Depth=1
	s_or_b64 exec, exec, s[8:9]
	v_cmp_eq_u16_sdwa s[8:9], v9, v10 src0_sel:BYTE_0 src1_sel:DWORD
	v_and_b32_e32 v40, 0xffff, v39
	v_and_b32_e32 v5, s9, v4
	ds_bpermute_b32 v41, v11, v40
	v_or_b32_e32 v5, 0x80000000, v5
	v_and_b32_e32 v6, s8, v3
	v_ffbl_b32_e32 v5, v5
	v_add_u32_e32 v5, 32, v5
	v_ffbl_b32_e32 v6, v6
	v_min_u32_e32 v5, v6, v5
	s_waitcnt lgkmcnt(0)
	v_mul_lo_u16_e32 v6, v41, v39
	v_cmp_le_u32_e32 vcc, v12, v5
	v_cndmask_b32_e32 v40, v40, v6, vcc
	ds_bpermute_b32 v41, v13, v40
	v_cndmask_b32_e32 v6, v39, v6, vcc
	v_cmp_le_u32_e64 s[8:9], v14, v5
	v_cmp_le_u32_e64 s[10:11], v16, v5
	;; [unrolled: 1-line block ×3, first 2 shown]
	s_waitcnt lgkmcnt(0)
	v_mul_lo_u16_e32 v41, v6, v41
	v_cndmask_b32_e64 v40, v40, v41, s[8:9]
	ds_bpermute_b32 v42, v15, v40
	v_cndmask_b32_e64 v6, v6, v41, s[8:9]
	s_or_b64 s[8:9], vcc, s[8:9]
	v_cmp_le_u32_e32 vcc, v36, v5
	s_or_b64 s[8:9], s[10:11], s[8:9]
	s_waitcnt lgkmcnt(0)
	v_mul_lo_u16_e32 v41, v6, v42
	v_cndmask_b32_e64 v40, v40, v41, s[10:11]
	ds_bpermute_b32 v42, v32, v40
	v_cndmask_b32_e64 v6, v6, v41, s[10:11]
	s_or_b64 s[8:9], s[12:13], s[8:9]
	s_or_b64 s[8:9], vcc, s[8:9]
	v_subrev_u32_e32 v1, 64, v1
	s_waitcnt lgkmcnt(0)
	v_mul_lo_u16_e32 v41, v6, v42
	v_cndmask_b32_e64 v40, v40, v41, s[12:13]
	ds_bpermute_b32 v42, v34, v40
	v_cndmask_b32_e64 v6, v6, v41, s[12:13]
	s_waitcnt lgkmcnt(0)
	v_mul_lo_u16_e32 v41, v6, v42
	v_cndmask_b32_e32 v40, v40, v41, vcc
	ds_bpermute_b32 v40, v37, v40
	v_cndmask_b32_e32 v6, v6, v41, vcc
	v_cmp_le_u32_e32 vcc, v38, v5
	s_waitcnt lgkmcnt(0)
	v_cndmask_b32_e32 v5, 1, v40, vcc
	v_mul_lo_u16_e32 v5, v6, v5
	s_or_b64 vcc, vcc, s[8:9]
	v_cndmask_b32_e32 v5, v39, v5, vcc
	v_mul_lo_u16_e32 v5, v5, v35
	s_mov_b64 s[8:9], 0
.LBB39_67:                              ;   in Loop: Header=BB39_68 Depth=1
	s_and_b64 vcc, exec, s[8:9]
	s_cbranch_vccnz .LBB39_73
.LBB39_68:                              ; =>This Loop Header: Depth=1
                                        ;     Child Loop BB39_71 Depth 2
	v_cmp_ne_u16_sdwa s[8:9], v9, v10 src0_sel:BYTE_0 src1_sel:DWORD
	v_mov_b32_e32 v35, v5
	s_cmp_lg_u64 s[8:9], exec
	s_mov_b64 s[8:9], -1
                                        ; implicit-def: $vgpr5
                                        ; implicit-def: $vgpr9
	s_cbranch_scc1 .LBB39_67
; %bb.69:                               ;   in Loop: Header=BB39_68 Depth=1
	v_lshlrev_b64 v[5:6], 2, v[1:2]
	v_mov_b32_e32 v9, s21
	v_add_co_u32_e32 v5, vcc, s20, v5
	v_addc_co_u32_e32 v6, vcc, v9, v6, vcc
	global_load_dword v39, v[5:6], off glc
	s_waitcnt vmcnt(0)
	v_lshrrev_b32_e32 v9, 16, v39
	v_cmp_eq_u16_sdwa s[10:11], v9, v2 src0_sel:BYTE_0 src1_sel:DWORD
	s_and_saveexec_b64 s[8:9], s[10:11]
	s_cbranch_execz .LBB39_66
; %bb.70:                               ;   in Loop: Header=BB39_68 Depth=1
	s_mov_b64 s[10:11], 0
.LBB39_71:                              ;   Parent Loop BB39_68 Depth=1
                                        ; =>  This Inner Loop Header: Depth=2
	global_load_dword v39, v[5:6], off glc
	s_waitcnt vmcnt(0)
	v_lshrrev_b32_e32 v9, 16, v39
	v_cmp_ne_u16_sdwa s[12:13], v9, v2 src0_sel:BYTE_0 src1_sel:DWORD
	s_or_b64 s[10:11], s[12:13], s[10:11]
	s_andn2_b64 exec, exec, s[10:11]
	s_cbranch_execnz .LBB39_71
	s_branch .LBB39_65
.LBB39_72:
                                        ; implicit-def: $vgpr1_vgpr2_vgpr3_vgpr4_vgpr5_vgpr6_vgpr7_vgpr8_vgpr9_vgpr10_vgpr11_vgpr12_vgpr13_vgpr14_vgpr15_vgpr16
	s_load_dwordx4 s[8:11], s[4:5], 0x30
	s_cbranch_execnz .LBB39_78
	s_branch .LBB39_87
.LBB39_73:
	s_and_saveexec_b64 s[8:9], s[2:3]
	s_cbranch_execz .LBB39_75
; %bb.74:
	s_add_i32 s2, s6, 64
	s_mov_b32 s3, 0
	s_lshl_b64 s[2:3], s[2:3], 2
	v_mul_lo_u16_e32 v1, v35, v8
	s_add_u32 s2, s20, s2
	v_or_b32_e32 v1, 0x20000, v1
	s_addc_u32 s3, s21, s3
	v_mov_b32_e32 v2, 0
	global_store_dword v2, v1, s[2:3]
.LBB39_75:
	s_or_b64 exec, exec, s[8:9]
	s_and_b64 exec, exec, s[0:1]
; %bb.76:
	v_mov_b32_e32 v1, 0
	ds_write_b16 v1, v35
.LBB39_77:
	s_or_b64 exec, exec, s[22:23]
	v_mov_b32_e32 v1, 0
	s_waitcnt vmcnt(0) lgkmcnt(0)
	s_barrier
	ds_read_u16 v1, v1
	v_mul_lo_u16_e32 v2, v7, v17
	s_mov_b32 s0, 0x5040100
	s_waitcnt lgkmcnt(0)
	v_mul_lo_u16_e32 v1, v2, v1
	v_mul_lo_u16_sdwa v13, v1, v17 dst_sel:DWORD dst_unused:UNUSED_PAD src0_sel:DWORD src1_sel:WORD_1
	v_mul_lo_u16_e32 v2, v13, v18
	v_mul_lo_u16_sdwa v3, v2, v18 dst_sel:DWORD dst_unused:UNUSED_PAD src0_sel:DWORD src1_sel:WORD_1
	;; [unrolled: 2-line block ×12, first 2 shown]
	v_perm_b32 v2, v3, v2, s0
	v_perm_b32 v3, v5, v4, s0
	;; [unrolled: 1-line block ×12, first 2 shown]
	s_load_dwordx4 s[8:11], s[4:5], 0x30
	s_branch .LBB39_87
.LBB39_78:
	s_load_dword s2, s[4:5], 0x40
	v_cmp_eq_u32_e32 vcc, 0, v0
	v_cmp_ne_u32_e64 s[0:1], 0, v0
	s_waitcnt lgkmcnt(0)
	s_bitcmp1_b32 s2, 0
	s_cselect_b64 s[2:3], -1, 0
	s_and_b64 s[6:7], vcc, s[2:3]
	s_and_saveexec_b64 s[2:3], s[6:7]
	s_cbranch_execz .LBB39_80
; %bb.79:
	v_mov_b32_e32 v1, 0
	global_load_ushort v1, v1, s[8:9]
	s_mov_b32 s6, 0xffff
	s_waitcnt vmcnt(0)
	v_mul_lo_u16_e32 v1, v1, v17
	v_bfi_b32 v17, s6, v1, v17
.LBB39_80:
	s_or_b64 exec, exec, s[2:3]
	v_mul_lo_u16_sdwa v1, v17, v17 dst_sel:DWORD dst_unused:UNUSED_PAD src0_sel:WORD_1 src1_sel:DWORD
	v_mul_lo_u16_e32 v2, v1, v18
	v_mul_lo_u16_sdwa v13, v2, v18 dst_sel:DWORD dst_unused:UNUSED_PAD src0_sel:DWORD src1_sel:WORD_1
	v_mul_lo_u16_e32 v3, v13, v19
	v_mul_lo_u16_sdwa v14, v3, v19 dst_sel:DWORD dst_unused:UNUSED_PAD src0_sel:DWORD src1_sel:WORD_1
	;; [unrolled: 2-line block ×10, first 2 shown]
	v_mul_lo_u16_e32 v12, v37, v24
	v_and_b32_e32 v31, 14, v31
	v_mul_lo_u16_sdwa v38, v12, v24 dst_sel:DWORD dst_unused:UNUSED_PAD src0_sel:DWORD src1_sel:WORD_1
	v_lshl_add_u32 v31, v0, 1, v31
	v_cmp_gt_u32_e64 s[2:3], 64, v0
	ds_write_b16 v31, v38
	s_waitcnt lgkmcnt(0)
	s_barrier
	s_and_saveexec_b64 s[6:7], s[2:3]
	s_cbranch_execz .LBB39_82
; %bb.81:
	v_lshrrev_b32_e32 v31, 2, v0
	v_and_b32_e32 v31, 62, v31
	v_lshl_add_u32 v31, v0, 3, v31
	ds_read_b64 v[39:40], v31
	v_mbcnt_lo_u32_b32 v41, -1, 0
	v_mbcnt_hi_u32_b32 v41, -1, v41
	v_and_b32_e32 v42, 15, v41
	v_cmp_eq_u32_e64 s[2:3], 0, v42
	s_waitcnt lgkmcnt(0)
	v_mul_lo_u16_sdwa v43, v39, v39 dst_sel:DWORD dst_unused:UNUSED_PAD src0_sel:WORD_1 src1_sel:DWORD
	v_mul_lo_u16_e32 v43, v43, v40
	v_mul_lo_u16_sdwa v43, v43, v40 dst_sel:DWORD dst_unused:UNUSED_PAD src0_sel:DWORD src1_sel:WORD_1
	v_and_b32_e32 v45, 64, v41
	s_nop 0
	v_mov_b32_dpp v44, v43 row_shr:1 row_mask:0xf bank_mask:0xf
	v_mul_lo_u16_e32 v44, v43, v44
	v_cndmask_b32_e64 v43, v44, v43, s[2:3]
	v_cmp_lt_u32_e64 s[2:3], 1, v42
	s_nop 0
	v_mov_b32_dpp v44, v43 row_shr:2 row_mask:0xf bank_mask:0xf
	v_mul_lo_u16_e32 v44, v43, v44
	v_cndmask_b32_e64 v43, v43, v44, s[2:3]
	v_cmp_lt_u32_e64 s[2:3], 3, v42
	;; [unrolled: 5-line block ×3, first 2 shown]
	s_nop 0
	v_mov_b32_dpp v44, v43 row_shr:8 row_mask:0xf bank_mask:0xf
	v_mul_lo_u16_e32 v44, v43, v44
	v_cndmask_b32_e64 v42, v43, v44, s[2:3]
	v_and_b32_e32 v44, 16, v41
	v_cmp_eq_u32_e64 s[2:3], 0, v44
	v_mov_b32_dpp v43, v42 row_bcast:15 row_mask:0xf bank_mask:0xf
	v_mul_lo_u16_e32 v43, v42, v43
	v_cndmask_b32_e64 v42, v43, v42, s[2:3]
	v_cmp_lt_u32_e64 s[2:3], 31, v41
	v_add_u32_e32 v44, -1, v41
	v_mov_b32_dpp v43, v42 row_bcast:31 row_mask:0xf bank_mask:0xf
	v_cndmask_b32_e64 v43, 1, v43, s[2:3]
	v_cmp_lt_i32_e64 s[2:3], v44, v45
	v_cndmask_b32_e64 v41, v44, v41, s[2:3]
	v_lshlrev_b32_e32 v41, 2, v41
	v_mul_lo_u16_e32 v42, v42, v43
	ds_bpermute_b32 v41, v41, v42
	s_mov_b32 s2, 0x5040100
	s_waitcnt lgkmcnt(0)
	v_mul_lo_u16_e32 v41, v39, v41
	v_cndmask_b32_e32 v41, v41, v38, vcc
	v_mul_lo_u16_sdwa v39, v41, v39 dst_sel:DWORD dst_unused:UNUSED_PAD src0_sel:DWORD src1_sel:WORD_1
	v_mul_lo_u16_e32 v42, v39, v40
	v_mul_lo_u16_sdwa v40, v42, v40 dst_sel:DWORD dst_unused:UNUSED_PAD src0_sel:DWORD src1_sel:WORD_1
	v_perm_b32 v39, v39, v41, s2
	v_perm_b32 v40, v40, v42, s2
	ds_write_b64 v31, v[39:40]
.LBB39_82:
	s_or_b64 exec, exec, s[6:7]
	s_waitcnt lgkmcnt(0)
	s_barrier
	s_and_saveexec_b64 s[2:3], s[0:1]
	s_cbranch_execz .LBB39_84
; %bb.83:
	v_add_u32_e32 v1, -1, v0
	v_lshrrev_b32_e32 v2, 4, v1
	v_and_b32_e32 v2, 0xffffffe, v2
	v_lshl_add_u32 v1, v1, 1, v2
	ds_read_u16 v1, v1
	s_waitcnt lgkmcnt(0)
	v_mul_lo_u16_e32 v31, v1, v17
	v_mul_lo_u16_sdwa v1, v31, v17 dst_sel:DWORD dst_unused:UNUSED_PAD src0_sel:DWORD src1_sel:WORD_1
	v_mul_lo_u16_e32 v2, v1, v18
	v_mul_lo_u16_sdwa v13, v2, v18 dst_sel:DWORD dst_unused:UNUSED_PAD src0_sel:DWORD src1_sel:WORD_1
	;; [unrolled: 2-line block ×12, first 2 shown]
	v_mov_b32_e32 v17, v31
.LBB39_84:
	s_or_b64 exec, exec, s[2:3]
	s_mov_b32 s0, 0x5040100
	v_perm_b32 v12, v38, v12, s0
	v_perm_b32 v11, v37, v11, s0
	;; [unrolled: 1-line block ×12, first 2 shown]
	s_and_saveexec_b64 s[0:1], vcc
	s_cbranch_execz .LBB39_86
; %bb.85:
	v_mov_b32_e32 v13, 0
	ds_read_u16 v14, v13 offset:524
	s_waitcnt lgkmcnt(0)
	v_or_b32_e32 v14, 0x20000, v14
	global_store_dword v13, v14, s[20:21] offset:256
.LBB39_86:
	s_or_b64 exec, exec, s[0:1]
.LBB39_87:
	s_add_u32 s0, s14, s18
	s_addc_u32 s1, s15, s19
	s_mov_b64 s[2:3], -1
	s_and_b64 vcc, exec, s[16:17]
	s_waitcnt vmcnt(0) lgkmcnt(0)
	s_barrier
	s_cbranch_vccz .LBB39_89
; %bb.88:
	v_mov_b32_e32 v39, s1
	v_add_co_u32_e32 v40, vcc, s0, v29
	ds_write_b128 v30, v[1:4]
	ds_write_b128 v30, v[5:8] offset:16
	ds_write_b128 v30, v[9:12] offset:32
	s_waitcnt lgkmcnt(0)
	s_barrier
	ds_read_u16 v13, v29
	ds_read_u16 v14, v29 offset:512
	ds_read_u16 v15, v29 offset:1024
	;; [unrolled: 1-line block ×23, first 2 shown]
	v_addc_co_u32_e32 v39, vcc, 0, v39, vcc
	s_movk_i32 s2, 0x1000
	s_waitcnt lgkmcnt(14)
	global_store_short v29, v13, s[0:1]
	global_store_short v29, v14, s[0:1] offset:512
	global_store_short v29, v15, s[0:1] offset:1024
	;; [unrolled: 1-line block ×7, first 2 shown]
	v_add_co_u32_e32 v13, vcc, s2, v40
	v_addc_co_u32_e32 v14, vcc, 0, v39, vcc
	global_store_short v[13:14], v21, off
	global_store_short v[13:14], v22, off offset:512
	s_waitcnt lgkmcnt(13)
	global_store_short v[13:14], v23, off offset:1024
	s_waitcnt lgkmcnt(12)
	;; [unrolled: 2-line block ×6, first 2 shown]
	global_store_short v[13:14], v28, off offset:3584
	v_add_co_u32_e32 v13, vcc, 0x2000, v40
	v_addc_co_u32_e32 v14, vcc, 0, v39, vcc
	s_waitcnt lgkmcnt(7)
	global_store_short v[13:14], v31, off
	s_waitcnt lgkmcnt(6)
	global_store_short v[13:14], v32, off offset:512
	s_waitcnt lgkmcnt(5)
	global_store_short v[13:14], v33, off offset:1024
	;; [unrolled: 2-line block ×7, first 2 shown]
	s_mov_b64 s[2:3], 0
.LBB39_89:
	s_andn2_b64 vcc, exec, s[2:3]
	s_cbranch_vccnz .LBB39_146
; %bb.90:
	ds_write_b128 v30, v[1:4]
	ds_write_b128 v30, v[5:8] offset:16
	ds_write_b128 v30, v[9:12] offset:32
	s_waitcnt vmcnt(0) lgkmcnt(0)
	s_barrier
	ds_read_u16 v5, v29
	ds_read_u16 v4, v29 offset:512
	ds_read_u16 v7, v29 offset:1024
	;; [unrolled: 1-line block ×23, first 2 shown]
	v_mov_b32_e32 v3, s1
	v_add_co_u32_e32 v2, vcc, s0, v29
	v_addc_co_u32_e32 v3, vcc, 0, v3, vcc
	v_mov_b32_e32 v1, 0
	v_cmp_gt_u32_e32 vcc, s24, v0
	s_and_saveexec_b64 s[0:1], vcc
	s_cbranch_execz .LBB39_92
; %bb.91:
	s_waitcnt lgkmcnt(14)
	global_store_short v[2:3], v5, off
.LBB39_92:
	s_or_b64 exec, exec, s[0:1]
	v_or_b32_e32 v28, 0x100, v0
	v_cmp_gt_u32_e32 vcc, s24, v28
	s_and_saveexec_b64 s[0:1], vcc
	s_cbranch_execz .LBB39_94
; %bb.93:
	s_waitcnt lgkmcnt(14)
	global_store_short v[2:3], v4, off offset:512
.LBB39_94:
	s_or_b64 exec, exec, s[0:1]
	v_or_b32_e32 v28, 0x200, v0
	v_cmp_gt_u32_e32 vcc, s24, v28
	s_and_saveexec_b64 s[0:1], vcc
	s_cbranch_execz .LBB39_96
; %bb.95:
	s_waitcnt lgkmcnt(14)
	global_store_short v[2:3], v7, off offset:1024
.LBB39_96:
	;; [unrolled: 9-line block ×7, first 2 shown]
	s_or_b64 exec, exec, s[0:1]
	v_or_b32_e32 v28, 0x800, v0
	v_cmp_gt_u32_e32 vcc, s24, v28
	s_and_saveexec_b64 s[0:1], vcc
	s_cbranch_execz .LBB39_108
; %bb.107:
	v_add_co_u32_e32 v28, vcc, 0x1000, v2
	v_addc_co_u32_e32 v29, vcc, 0, v3, vcc
	s_waitcnt lgkmcnt(14)
	global_store_short v[28:29], v18, off
.LBB39_108:
	s_or_b64 exec, exec, s[0:1]
	v_or_b32_e32 v28, 0x900, v0
	v_cmp_gt_u32_e32 vcc, s24, v28
	s_and_saveexec_b64 s[0:1], vcc
	s_cbranch_execz .LBB39_110
; %bb.109:
	v_add_co_u32_e32 v28, vcc, 0x1000, v2
	v_addc_co_u32_e32 v29, vcc, 0, v3, vcc
	s_waitcnt lgkmcnt(14)
	global_store_short v[28:29], v22, off offset:512
.LBB39_110:
	s_or_b64 exec, exec, s[0:1]
	v_or_b32_e32 v28, 0xa00, v0
	v_cmp_gt_u32_e32 vcc, s24, v28
	s_and_saveexec_b64 s[0:1], vcc
	s_cbranch_execz .LBB39_112
; %bb.111:
	v_add_co_u32_e32 v28, vcc, 0x1000, v2
	v_addc_co_u32_e32 v29, vcc, 0, v3, vcc
	s_waitcnt lgkmcnt(13)
	global_store_short v[28:29], v21, off offset:1024
.LBB39_112:
	;; [unrolled: 11-line block ×7, first 2 shown]
	s_or_b64 exec, exec, s[0:1]
	v_or_b32_e32 v28, 0x1000, v0
	v_cmp_gt_u32_e32 vcc, s24, v28
	s_and_saveexec_b64 s[0:1], vcc
	s_cbranch_execz .LBB39_124
; %bb.123:
	v_add_co_u32_e32 v28, vcc, 0x2000, v2
	v_addc_co_u32_e32 v29, vcc, 0, v3, vcc
	s_waitcnt lgkmcnt(7)
	global_store_short v[28:29], v23, off
.LBB39_124:
	s_or_b64 exec, exec, s[0:1]
	v_or_b32_e32 v28, 0x1100, v0
	v_cmp_gt_u32_e32 vcc, s24, v28
	s_and_saveexec_b64 s[0:1], vcc
	s_cbranch_execz .LBB39_126
; %bb.125:
	v_add_co_u32_e32 v28, vcc, 0x2000, v2
	v_addc_co_u32_e32 v29, vcc, 0, v3, vcc
	s_waitcnt lgkmcnt(6)
	global_store_short v[28:29], v25, off offset:512
.LBB39_126:
	s_or_b64 exec, exec, s[0:1]
	v_or_b32_e32 v28, 0x1200, v0
	v_cmp_gt_u32_e32 vcc, s24, v28
	s_and_saveexec_b64 s[0:1], vcc
	s_cbranch_execz .LBB39_128
; %bb.127:
	v_add_co_u32_e32 v28, vcc, 0x2000, v2
	v_addc_co_u32_e32 v29, vcc, 0, v3, vcc
	s_waitcnt lgkmcnt(5)
	global_store_short v[28:29], v26, off offset:1024
.LBB39_128:
	;; [unrolled: 11-line block ×7, first 2 shown]
	s_or_b64 exec, exec, s[0:1]
	s_load_dword s0, s[4:5], 0x40
	s_waitcnt lgkmcnt(0)
	s_bfe_u32 s0, s0, 0x10008
	s_cmp_eq_u32 s0, 0
	s_cbranch_scc1 .LBB39_146
; %bb.139:
	s_add_u32 s0, s24, -1
	s_addc_u32 s1, s25, -1
	s_mul_i32 s5, s1, 0xaaaaaaab
	s_mul_hi_u32 s6, s0, 0xaaaaaaab
	s_mul_hi_u32 s4, s1, 0xaaaaaaab
	s_add_u32 s5, s5, s6
	s_mul_i32 s3, s0, 0xaaaaaaaa
	s_addc_u32 s4, s4, 0
	s_mul_hi_u32 s2, s0, 0xaaaaaaaa
	s_add_u32 s3, s3, s5
	s_addc_u32 s2, s2, 0
	s_add_u32 s2, s4, s2
	s_addc_u32 s3, 0, 0
	s_mul_i32 s5, s1, 0xaaaaaaaa
	s_mul_hi_u32 s4, s1, 0xaaaaaaaa
	s_add_u32 s2, s5, s2
	s_addc_u32 s3, s4, s3
	s_lshr_b64 s[2:3], s[2:3], 4
	v_cmp_eq_u64_e32 vcc, s[2:3], v[0:1]
	s_and_saveexec_b64 s[2:3], vcc
	s_cbranch_execz .LBB39_146
; %bb.140:
	v_mul_hi_u32_u24_e32 v1, 24, v0
	v_mul_u32_u24_e32 v0, 24, v0
	v_mov_b32_e32 v2, s1
	v_sub_co_u32_e32 v0, vcc, s0, v0
	v_subb_co_u32_e32 v1, vcc, v2, v1, vcc
	v_cmp_lt_i64_e32 vcc, 11, v[0:1]
	s_mov_b64 s[0:1], 0
	s_mov_b64 s[8:9], 0
	;; [unrolled: 1-line block ×4, first 2 shown]
	s_and_saveexec_b64 s[2:3], vcc
	s_xor_b64 s[2:3], exec, s[2:3]
	s_cbranch_execnz .LBB39_147
; %bb.141:
	s_andn2_saveexec_b64 s[2:3], s[2:3]
	s_cbranch_execnz .LBB39_192
.LBB39_142:
	s_or_b64 exec, exec, s[2:3]
	s_and_saveexec_b64 s[2:3], s[8:9]
	s_cbranch_execnz .LBB39_209
.LBB39_143:
	s_or_b64 exec, exec, s[2:3]
	s_and_saveexec_b64 s[2:3], s[6:7]
	s_cbranch_execnz .LBB39_210
.LBB39_144:
	s_or_b64 exec, exec, s[2:3]
	s_and_saveexec_b64 s[2:3], s[4:5]
	s_xor_b64 s[2:3], exec, s[2:3]
	s_cbranch_execnz .LBB39_211
.LBB39_145:
	s_or_b64 exec, exec, s[2:3]
	s_and_b64 exec, exec, s[0:1]
	s_cbranch_execnz .LBB39_212
.LBB39_146:
	s_endpgm
.LBB39_147:
	v_cmp_lt_i64_e32 vcc, 17, v[0:1]
	s_and_saveexec_b64 s[12:13], vcc
	s_xor_b64 s[12:13], exec, s[12:13]
	s_cbranch_execz .LBB39_169
; %bb.148:
	v_cmp_lt_i64_e32 vcc, 20, v[0:1]
	s_and_saveexec_b64 s[14:15], vcc
	s_xor_b64 s[14:15], exec, s[14:15]
	s_cbranch_execz .LBB39_158
; %bb.149:
	v_cmp_lt_i64_e32 vcc, 21, v[0:1]
	s_mov_b64 s[16:17], 0
	s_and_saveexec_b64 s[4:5], vcc
	s_xor_b64 s[4:5], exec, s[4:5]
	s_cbranch_execz .LBB39_155
; %bb.150:
	v_cmp_lt_i64_e32 vcc, 22, v[0:1]
	s_and_saveexec_b64 s[16:17], vcc
	s_xor_b64 s[16:17], exec, s[16:17]
	s_cbranch_execz .LBB39_152
; %bb.151:
	v_mov_b32_e32 v2, 0
	global_store_short v2, v27, s[10:11]
.LBB39_152:
	s_or_saveexec_b64 s[16:17], s[16:17]
	s_mov_b64 s[18:19], 0
	s_xor_b64 exec, exec, s[16:17]
; %bb.153:
	s_mov_b64 s[18:19], exec
; %bb.154:
	s_or_b64 exec, exec, s[16:17]
	s_and_b64 s[16:17], s[18:19], exec
.LBB39_155:
	s_andn2_saveexec_b64 s[4:5], s[4:5]
; %bb.156:
	s_mov_b64 s[6:7], exec
; %bb.157:
	s_or_b64 exec, exec, s[4:5]
	s_and_b64 s[4:5], s[16:17], exec
	s_and_b64 s[6:7], s[6:7], exec
                                        ; implicit-def: $vgpr26
                                        ; implicit-def: $vgpr24
.LBB39_158:
	s_andn2_saveexec_b64 s[14:15], s[14:15]
	s_cbranch_execz .LBB39_168
; %bb.159:
	v_cmp_lt_i64_e32 vcc, 18, v[0:1]
	s_mov_b64 s[16:17], 0
	s_and_saveexec_b64 s[8:9], vcc
	s_xor_b64 s[8:9], exec, s[8:9]
	s_cbranch_execz .LBB39_165
; %bb.160:
	v_cmp_lt_i64_e32 vcc, 19, v[0:1]
	s_and_saveexec_b64 s[18:19], vcc
	s_xor_b64 s[18:19], exec, s[18:19]
; %bb.161:
	s_mov_b64 s[16:17], exec
                                        ; implicit-def: $vgpr24
; %bb.162:
	s_andn2_saveexec_b64 s[18:19], s[18:19]
	s_cbranch_execz .LBB39_164
; %bb.163:
	v_mov_b32_e32 v2, 0
	global_store_short v2, v24, s[10:11]
.LBB39_164:
	s_or_b64 exec, exec, s[18:19]
	s_and_b64 s[16:17], s[16:17], exec
                                        ; implicit-def: $vgpr26
.LBB39_165:
	s_andn2_saveexec_b64 s[8:9], s[8:9]
	s_cbranch_execz .LBB39_167
; %bb.166:
	v_mov_b32_e32 v2, 0
	global_store_short v2, v26, s[10:11]
.LBB39_167:
	s_or_b64 exec, exec, s[8:9]
	s_and_b64 s[8:9], s[16:17], exec
.LBB39_168:
	s_or_b64 exec, exec, s[14:15]
	s_and_b64 s[4:5], s[4:5], exec
	s_and_b64 s[6:7], s[6:7], exec
	;; [unrolled: 1-line block ×3, first 2 shown]
                                        ; implicit-def: $vgpr17
                                        ; implicit-def: $vgpr15
                                        ; implicit-def: $vgpr16
                                        ; implicit-def: $vgpr20
                                        ; implicit-def: $vgpr23
                                        ; implicit-def: $vgpr25
.LBB39_169:
	s_andn2_saveexec_b64 s[12:13], s[12:13]
	s_cbranch_execz .LBB39_191
; %bb.170:
	v_cmp_lt_i64_e32 vcc, 14, v[0:1]
	s_mov_b64 s[14:15], s[4:5]
	s_and_saveexec_b64 s[16:17], vcc
	s_xor_b64 s[16:17], exec, s[16:17]
	s_cbranch_execz .LBB39_180
; %bb.171:
	v_cmp_lt_i64_e32 vcc, 15, v[0:1]
	s_and_saveexec_b64 s[14:15], vcc
	s_xor_b64 s[14:15], exec, s[14:15]
	s_cbranch_execz .LBB39_177
; %bb.172:
	v_cmp_lt_i64_e32 vcc, 16, v[0:1]
	s_and_saveexec_b64 s[18:19], vcc
	s_xor_b64 s[18:19], exec, s[18:19]
	s_cbranch_execz .LBB39_174
; %bb.173:
	v_mov_b32_e32 v2, 0
	global_store_short v2, v25, s[10:11]
                                        ; implicit-def: $vgpr23
.LBB39_174:
	s_andn2_saveexec_b64 s[18:19], s[18:19]
	s_cbranch_execz .LBB39_176
; %bb.175:
	v_mov_b32_e32 v2, 0
	global_store_short v2, v23, s[10:11]
.LBB39_176:
	s_or_b64 exec, exec, s[18:19]
.LBB39_177:
	s_or_saveexec_b64 s[14:15], s[14:15]
	s_mov_b64 s[18:19], s[4:5]
	s_xor_b64 exec, exec, s[14:15]
; %bb.178:
	s_or_b64 s[18:19], s[4:5], exec
; %bb.179:
	s_or_b64 exec, exec, s[14:15]
	s_andn2_b64 s[14:15], s[4:5], exec
	s_and_b64 s[18:19], s[18:19], exec
	s_or_b64 s[14:15], s[14:15], s[18:19]
                                        ; implicit-def: $vgpr16
                                        ; implicit-def: $vgpr20
                                        ; implicit-def: $vgpr15
.LBB39_180:
	s_or_saveexec_b64 s[16:17], s[16:17]
	s_mov_b64 s[18:19], s[6:7]
                                        ; implicit-def: $vgpr11
	s_xor_b64 exec, exec, s[16:17]
	s_cbranch_execz .LBB39_190
; %bb.181:
	v_cmp_lt_i64_e32 vcc, 12, v[0:1]
	s_mov_b64 s[20:21], s[6:7]
	s_mov_b64 s[22:23], s[14:15]
	s_and_saveexec_b64 s[18:19], vcc
	s_xor_b64 s[18:19], exec, s[18:19]
	s_cbranch_execz .LBB39_187
; %bb.182:
	v_cmp_lt_i64_e32 vcc, 13, v[0:1]
	s_mov_b64 s[20:21], s[14:15]
	s_and_saveexec_b64 s[22:23], vcc
	s_xor_b64 s[22:23], exec, s[22:23]
; %bb.183:
	s_or_b64 s[20:21], s[14:15], exec
; %bb.184:
	s_or_saveexec_b64 s[22:23], s[22:23]
	s_mov_b64 s[24:25], s[6:7]
	s_xor_b64 exec, exec, s[22:23]
; %bb.185:
	s_or_b64 s[24:25], s[6:7], exec
; %bb.186:
	s_or_b64 exec, exec, s[22:23]
	s_andn2_b64 s[22:23], s[14:15], exec
	s_and_b64 s[20:21], s[20:21], exec
	s_or_b64 s[22:23], s[22:23], s[20:21]
	s_andn2_b64 s[20:21], s[6:7], exec
	s_and_b64 s[24:25], s[24:25], exec
	s_or_b64 s[20:21], s[20:21], s[24:25]
                                        ; implicit-def: $vgpr20
.LBB39_187:
	s_andn2_saveexec_b64 s[18:19], s[18:19]
; %bb.188:
	s_or_b64 s[20:21], s[20:21], exec
	v_mov_b32_e32 v16, v20
; %bb.189:
	s_or_b64 exec, exec, s[18:19]
	s_andn2_b64 s[14:15], s[14:15], exec
	s_and_b64 s[18:19], s[22:23], exec
	s_or_b64 s[14:15], s[14:15], s[18:19]
	s_andn2_b64 s[18:19], s[6:7], exec
	s_and_b64 s[20:21], s[20:21], exec
	s_or_b64 s[18:19], s[18:19], s[20:21]
	v_mov_b32_e32 v17, v15
	v_mov_b32_e32 v11, v16
.LBB39_190:
	s_or_b64 exec, exec, s[16:17]
	s_andn2_b64 s[4:5], s[4:5], exec
	s_and_b64 s[14:15], s[14:15], exec
	s_or_b64 s[4:5], s[4:5], s[14:15]
	s_andn2_b64 s[6:7], s[6:7], exec
	s_and_b64 s[14:15], s[18:19], exec
	s_or_b64 s[6:7], s[6:7], s[14:15]
	v_mov_b32_e32 v12, v17
.LBB39_191:
	s_or_b64 exec, exec, s[12:13]
	s_and_b64 s[4:5], s[4:5], exec
	s_and_b64 s[6:7], s[6:7], exec
	s_and_b64 s[8:9], s[8:9], exec
                                        ; implicit-def: $vgpr18
                                        ; implicit-def: $vgpr22
                                        ; implicit-def: $vgpr19
                                        ; implicit-def: $vgpr21
                                        ; implicit-def: $vgpr13
                                        ; implicit-def: $vgpr14
	s_andn2_saveexec_b64 s[2:3], s[2:3]
	s_cbranch_execz .LBB39_142
.LBB39_192:
	v_cmp_lt_i64_e32 vcc, 5, v[0:1]
	s_mov_b64 s[14:15], -1
	s_mov_b64 s[12:13], s[8:9]
	s_mov_b64 s[16:17], s[6:7]
	;; [unrolled: 1-line block ×3, first 2 shown]
                                        ; implicit-def: $vgpr10
	s_and_saveexec_b64 s[0:1], vcc
	s_cbranch_execz .LBB39_208
; %bb.193:
	v_cmp_lt_i64_e32 vcc, 8, v[0:1]
	s_mov_b64 s[12:13], s[8:9]
                                        ; implicit-def: $vgpr10
	s_and_saveexec_b64 s[14:15], vcc
	s_xor_b64 s[14:15], exec, s[14:15]
	s_cbranch_execz .LBB39_203
; %bb.194:
	v_cmp_lt_i64_e32 vcc, 9, v[0:1]
	s_and_saveexec_b64 s[12:13], vcc
	s_xor_b64 s[12:13], exec, s[12:13]
	s_cbranch_execz .LBB39_200
; %bb.195:
	v_cmp_lt_i64_e32 vcc, 10, v[0:1]
	s_and_saveexec_b64 s[16:17], vcc
	s_xor_b64 s[16:17], exec, s[16:17]
; %bb.196:
                                        ; implicit-def: $vgpr21
; %bb.197:
	s_andn2_saveexec_b64 s[16:17], s[16:17]
; %bb.198:
	v_mov_b32_e32 v19, v21
; %bb.199:
	s_or_b64 exec, exec, s[16:17]
                                        ; implicit-def: $vgpr22
.LBB39_200:
	s_andn2_saveexec_b64 s[12:13], s[12:13]
; %bb.201:
	v_mov_b32_e32 v19, v22
; %bb.202:
	s_or_b64 exec, exec, s[12:13]
	s_or_b64 s[12:13], s[8:9], exec
	v_mov_b32_e32 v10, v19
                                        ; implicit-def: $vgpr18
.LBB39_203:
	s_or_saveexec_b64 s[14:15], s[14:15]
	s_mov_b64 s[16:17], s[6:7]
	s_mov_b64 s[20:21], s[4:5]
	s_xor_b64 exec, exec, s[14:15]
	s_cbranch_execz .LBB39_207
; %bb.204:
	v_cmp_lt_i64_e32 vcc, 6, v[0:1]
	s_mov_b64 s[20:21], -1
	s_mov_b64 s[18:19], s[12:13]
	s_mov_b64 s[16:17], s[6:7]
	s_and_saveexec_b64 s[22:23], vcc
; %bb.205:
	v_cmp_lt_i64_e32 vcc, 7, v[0:1]
	s_andn2_b64 s[18:19], s[12:13], exec
	s_and_b64 s[24:25], vcc, exec
	s_xor_b64 s[20:21], exec, -1
	s_or_b64 s[16:17], s[6:7], exec
	s_or_b64 s[18:19], s[18:19], s[24:25]
; %bb.206:
	s_or_b64 exec, exec, s[22:23]
	s_andn2_b64 s[22:23], s[4:5], exec
	s_and_b64 s[20:21], s[20:21], exec
	s_or_b64 s[20:21], s[22:23], s[20:21]
	s_andn2_b64 s[22:23], s[6:7], exec
	s_and_b64 s[16:17], s[16:17], exec
	s_andn2_b64 s[12:13], s[12:13], exec
	s_and_b64 s[18:19], s[18:19], exec
	s_or_b64 s[16:17], s[22:23], s[16:17]
	s_or_b64 s[12:13], s[12:13], s[18:19]
	v_mov_b32_e32 v10, v18
.LBB39_207:
	s_or_b64 exec, exec, s[14:15]
	s_andn2_b64 s[18:19], s[4:5], exec
	s_and_b64 s[20:21], s[20:21], exec
	s_or_b64 s[18:19], s[18:19], s[20:21]
	s_andn2_b64 s[20:21], s[6:7], exec
	s_and_b64 s[16:17], s[16:17], exec
	s_or_b64 s[16:17], s[20:21], s[16:17]
	s_andn2_b64 s[20:21], s[8:9], exec
	s_and_b64 s[12:13], s[12:13], exec
	s_xor_b64 s[14:15], exec, -1
	s_or_b64 s[12:13], s[20:21], s[12:13]
.LBB39_208:
	s_or_b64 exec, exec, s[0:1]
	s_and_b64 s[0:1], s[14:15], exec
	s_andn2_b64 s[4:5], s[4:5], exec
	s_and_b64 s[14:15], s[18:19], exec
	s_or_b64 s[4:5], s[4:5], s[14:15]
	s_andn2_b64 s[6:7], s[6:7], exec
	s_and_b64 s[14:15], s[16:17], exec
	s_andn2_b64 s[8:9], s[8:9], exec
	s_and_b64 s[12:13], s[12:13], exec
	s_or_b64 s[6:7], s[6:7], s[14:15]
	s_or_b64 s[8:9], s[8:9], s[12:13]
	v_mov_b32_e32 v12, v13
	v_mov_b32_e32 v11, v14
	s_or_b64 exec, exec, s[2:3]
	s_and_saveexec_b64 s[2:3], s[8:9]
	s_cbranch_execz .LBB39_143
.LBB39_209:
	v_mov_b32_e32 v2, 0
	s_andn2_b64 s[6:7], s[6:7], exec
	global_store_short v2, v10, s[10:11]
	s_or_b64 exec, exec, s[2:3]
	s_and_saveexec_b64 s[2:3], s[6:7]
	s_cbranch_execz .LBB39_144
.LBB39_210:
	v_mov_b32_e32 v2, 0
	global_store_short v2, v11, s[10:11]
	s_or_b64 exec, exec, s[2:3]
	s_and_saveexec_b64 s[2:3], s[4:5]
	s_xor_b64 s[2:3], exec, s[2:3]
	s_cbranch_execz .LBB39_145
.LBB39_211:
	v_mov_b32_e32 v2, 0
	global_store_short v2, v12, s[10:11]
	s_or_b64 exec, exec, s[2:3]
	s_and_b64 exec, exec, s[0:1]
	s_cbranch_execz .LBB39_146
.LBB39_212:
	v_cmp_lt_i64_e32 vcc, 2, v[0:1]
	s_and_saveexec_b64 s[0:1], vcc
	s_xor_b64 s[0:1], exec, s[0:1]
	s_cbranch_execz .LBB39_222
; %bb.213:
	v_cmp_lt_i64_e32 vcc, 3, v[0:1]
	s_and_saveexec_b64 s[2:3], vcc
	s_xor_b64 s[2:3], exec, s[2:3]
	s_cbranch_execz .LBB39_219
; %bb.214:
	;; [unrolled: 5-line block ×3, first 2 shown]
	v_mov_b32_e32 v0, 0
	global_store_short v0, v9, s[10:11]
                                        ; implicit-def: $vgpr6
.LBB39_216:
	s_andn2_saveexec_b64 s[4:5], s[4:5]
	s_cbranch_execz .LBB39_218
; %bb.217:
	v_mov_b32_e32 v0, 0
	global_store_short v0, v6, s[10:11]
.LBB39_218:
	s_or_b64 exec, exec, s[4:5]
                                        ; implicit-def: $vgpr8
.LBB39_219:
	s_andn2_saveexec_b64 s[2:3], s[2:3]
	s_cbranch_execz .LBB39_221
; %bb.220:
	v_mov_b32_e32 v0, 0
	global_store_short v0, v8, s[10:11]
.LBB39_221:
	s_or_b64 exec, exec, s[2:3]
                                        ; implicit-def: $vgpr0_vgpr1
                                        ; implicit-def: $vgpr7
                                        ; implicit-def: $vgpr4
                                        ; implicit-def: $vgpr5
.LBB39_222:
	s_andn2_saveexec_b64 s[0:1], s[0:1]
	s_cbranch_execz .LBB39_146
; %bb.223:
	v_cmp_lt_i64_e32 vcc, 1, v[0:1]
	s_and_saveexec_b64 s[0:1], vcc
	s_xor_b64 s[0:1], exec, s[0:1]
	s_cbranch_execz .LBB39_225
; %bb.224:
	v_mov_b32_e32 v0, 0
	global_store_short v0, v7, s[10:11]
                                        ; implicit-def: $vgpr4
                                        ; implicit-def: $vgpr0_vgpr1
                                        ; implicit-def: $vgpr5
.LBB39_225:
	s_andn2_saveexec_b64 s[0:1], s[0:1]
	s_cbranch_execz .LBB39_146
; %bb.226:
	v_cmp_ne_u64_e32 vcc, 1, v[0:1]
	s_and_saveexec_b64 s[0:1], vcc
	s_xor_b64 s[0:1], exec, s[0:1]
	s_cbranch_execz .LBB39_228
; %bb.227:
	v_mov_b32_e32 v0, 0
	global_store_short v0, v5, s[10:11]
                                        ; implicit-def: $vgpr4
.LBB39_228:
	s_andn2_saveexec_b64 s[0:1], s[0:1]
	s_cbranch_execz .LBB39_146
; %bb.229:
	v_mov_b32_e32 v0, 0
	global_store_short v0, v4, s[10:11]
	s_endpgm
	.section	.rodata,"a",@progbits
	.p2align	6, 0x0
	.amdhsa_kernel _ZN7rocprim17ROCPRIM_304000_NS6detail20lookback_scan_kernelILNS1_25lookback_scan_determinismE0ELb0ENS1_19wrapped_scan_configINS0_14default_configEsEEPKsPsSt10multipliesIsEssNS1_19lookback_scan_stateIsLb0ELb1EEEEEvT2_T3_mT5_T4_T7_jPT6_SK_bb
		.amdhsa_group_segment_fixed_size 12288
		.amdhsa_private_segment_fixed_size 0
		.amdhsa_kernarg_size 68
		.amdhsa_user_sgpr_count 6
		.amdhsa_user_sgpr_private_segment_buffer 1
		.amdhsa_user_sgpr_dispatch_ptr 0
		.amdhsa_user_sgpr_queue_ptr 0
		.amdhsa_user_sgpr_kernarg_segment_ptr 1
		.amdhsa_user_sgpr_dispatch_id 0
		.amdhsa_user_sgpr_flat_scratch_init 0
		.amdhsa_user_sgpr_private_segment_size 0
		.amdhsa_uses_dynamic_stack 0
		.amdhsa_system_sgpr_private_segment_wavefront_offset 0
		.amdhsa_system_sgpr_workgroup_id_x 1
		.amdhsa_system_sgpr_workgroup_id_y 0
		.amdhsa_system_sgpr_workgroup_id_z 0
		.amdhsa_system_sgpr_workgroup_info 0
		.amdhsa_system_vgpr_workitem_id 0
		.amdhsa_next_free_vgpr 46
		.amdhsa_next_free_sgpr 98
		.amdhsa_reserve_vcc 1
		.amdhsa_reserve_flat_scratch 0
		.amdhsa_float_round_mode_32 0
		.amdhsa_float_round_mode_16_64 0
		.amdhsa_float_denorm_mode_32 3
		.amdhsa_float_denorm_mode_16_64 3
		.amdhsa_dx10_clamp 1
		.amdhsa_ieee_mode 1
		.amdhsa_fp16_overflow 0
		.amdhsa_exception_fp_ieee_invalid_op 0
		.amdhsa_exception_fp_denorm_src 0
		.amdhsa_exception_fp_ieee_div_zero 0
		.amdhsa_exception_fp_ieee_overflow 0
		.amdhsa_exception_fp_ieee_underflow 0
		.amdhsa_exception_fp_ieee_inexact 0
		.amdhsa_exception_int_div_zero 0
	.end_amdhsa_kernel
	.section	.text._ZN7rocprim17ROCPRIM_304000_NS6detail20lookback_scan_kernelILNS1_25lookback_scan_determinismE0ELb0ENS1_19wrapped_scan_configINS0_14default_configEsEEPKsPsSt10multipliesIsEssNS1_19lookback_scan_stateIsLb0ELb1EEEEEvT2_T3_mT5_T4_T7_jPT6_SK_bb,"axG",@progbits,_ZN7rocprim17ROCPRIM_304000_NS6detail20lookback_scan_kernelILNS1_25lookback_scan_determinismE0ELb0ENS1_19wrapped_scan_configINS0_14default_configEsEEPKsPsSt10multipliesIsEssNS1_19lookback_scan_stateIsLb0ELb1EEEEEvT2_T3_mT5_T4_T7_jPT6_SK_bb,comdat
.Lfunc_end39:
	.size	_ZN7rocprim17ROCPRIM_304000_NS6detail20lookback_scan_kernelILNS1_25lookback_scan_determinismE0ELb0ENS1_19wrapped_scan_configINS0_14default_configEsEEPKsPsSt10multipliesIsEssNS1_19lookback_scan_stateIsLb0ELb1EEEEEvT2_T3_mT5_T4_T7_jPT6_SK_bb, .Lfunc_end39-_ZN7rocprim17ROCPRIM_304000_NS6detail20lookback_scan_kernelILNS1_25lookback_scan_determinismE0ELb0ENS1_19wrapped_scan_configINS0_14default_configEsEEPKsPsSt10multipliesIsEssNS1_19lookback_scan_stateIsLb0ELb1EEEEEvT2_T3_mT5_T4_T7_jPT6_SK_bb
                                        ; -- End function
	.set _ZN7rocprim17ROCPRIM_304000_NS6detail20lookback_scan_kernelILNS1_25lookback_scan_determinismE0ELb0ENS1_19wrapped_scan_configINS0_14default_configEsEEPKsPsSt10multipliesIsEssNS1_19lookback_scan_stateIsLb0ELb1EEEEEvT2_T3_mT5_T4_T7_jPT6_SK_bb.num_vgpr, 46
	.set _ZN7rocprim17ROCPRIM_304000_NS6detail20lookback_scan_kernelILNS1_25lookback_scan_determinismE0ELb0ENS1_19wrapped_scan_configINS0_14default_configEsEEPKsPsSt10multipliesIsEssNS1_19lookback_scan_stateIsLb0ELb1EEEEEvT2_T3_mT5_T4_T7_jPT6_SK_bb.num_agpr, 0
	.set _ZN7rocprim17ROCPRIM_304000_NS6detail20lookback_scan_kernelILNS1_25lookback_scan_determinismE0ELb0ENS1_19wrapped_scan_configINS0_14default_configEsEEPKsPsSt10multipliesIsEssNS1_19lookback_scan_stateIsLb0ELb1EEEEEvT2_T3_mT5_T4_T7_jPT6_SK_bb.numbered_sgpr, 26
	.set _ZN7rocprim17ROCPRIM_304000_NS6detail20lookback_scan_kernelILNS1_25lookback_scan_determinismE0ELb0ENS1_19wrapped_scan_configINS0_14default_configEsEEPKsPsSt10multipliesIsEssNS1_19lookback_scan_stateIsLb0ELb1EEEEEvT2_T3_mT5_T4_T7_jPT6_SK_bb.num_named_barrier, 0
	.set _ZN7rocprim17ROCPRIM_304000_NS6detail20lookback_scan_kernelILNS1_25lookback_scan_determinismE0ELb0ENS1_19wrapped_scan_configINS0_14default_configEsEEPKsPsSt10multipliesIsEssNS1_19lookback_scan_stateIsLb0ELb1EEEEEvT2_T3_mT5_T4_T7_jPT6_SK_bb.private_seg_size, 0
	.set _ZN7rocprim17ROCPRIM_304000_NS6detail20lookback_scan_kernelILNS1_25lookback_scan_determinismE0ELb0ENS1_19wrapped_scan_configINS0_14default_configEsEEPKsPsSt10multipliesIsEssNS1_19lookback_scan_stateIsLb0ELb1EEEEEvT2_T3_mT5_T4_T7_jPT6_SK_bb.uses_vcc, 1
	.set _ZN7rocprim17ROCPRIM_304000_NS6detail20lookback_scan_kernelILNS1_25lookback_scan_determinismE0ELb0ENS1_19wrapped_scan_configINS0_14default_configEsEEPKsPsSt10multipliesIsEssNS1_19lookback_scan_stateIsLb0ELb1EEEEEvT2_T3_mT5_T4_T7_jPT6_SK_bb.uses_flat_scratch, 0
	.set _ZN7rocprim17ROCPRIM_304000_NS6detail20lookback_scan_kernelILNS1_25lookback_scan_determinismE0ELb0ENS1_19wrapped_scan_configINS0_14default_configEsEEPKsPsSt10multipliesIsEssNS1_19lookback_scan_stateIsLb0ELb1EEEEEvT2_T3_mT5_T4_T7_jPT6_SK_bb.has_dyn_sized_stack, 0
	.set _ZN7rocprim17ROCPRIM_304000_NS6detail20lookback_scan_kernelILNS1_25lookback_scan_determinismE0ELb0ENS1_19wrapped_scan_configINS0_14default_configEsEEPKsPsSt10multipliesIsEssNS1_19lookback_scan_stateIsLb0ELb1EEEEEvT2_T3_mT5_T4_T7_jPT6_SK_bb.has_recursion, 0
	.set _ZN7rocprim17ROCPRIM_304000_NS6detail20lookback_scan_kernelILNS1_25lookback_scan_determinismE0ELb0ENS1_19wrapped_scan_configINS0_14default_configEsEEPKsPsSt10multipliesIsEssNS1_19lookback_scan_stateIsLb0ELb1EEEEEvT2_T3_mT5_T4_T7_jPT6_SK_bb.has_indirect_call, 0
	.section	.AMDGPU.csdata,"",@progbits
; Kernel info:
; codeLenInByte = 8984
; TotalNumSgprs: 30
; NumVgprs: 46
; ScratchSize: 0
; MemoryBound: 0
; FloatMode: 240
; IeeeMode: 1
; LDSByteSize: 12288 bytes/workgroup (compile time only)
; SGPRBlocks: 12
; VGPRBlocks: 11
; NumSGPRsForWavesPerEU: 102
; NumVGPRsForWavesPerEU: 46
; Occupancy: 5
; WaveLimiterHint : 1
; COMPUTE_PGM_RSRC2:SCRATCH_EN: 0
; COMPUTE_PGM_RSRC2:USER_SGPR: 6
; COMPUTE_PGM_RSRC2:TRAP_HANDLER: 0
; COMPUTE_PGM_RSRC2:TGID_X_EN: 1
; COMPUTE_PGM_RSRC2:TGID_Y_EN: 0
; COMPUTE_PGM_RSRC2:TGID_Z_EN: 0
; COMPUTE_PGM_RSRC2:TIDIG_COMP_CNT: 0
	.section	.text._ZN7rocprim17ROCPRIM_304000_NS6detail16transform_kernelINS1_24wrapped_transform_configINS0_14default_configEsEEsPsS6_NS0_8identityIsEEEEvT1_mT2_T3_,"axG",@progbits,_ZN7rocprim17ROCPRIM_304000_NS6detail16transform_kernelINS1_24wrapped_transform_configINS0_14default_configEsEEsPsS6_NS0_8identityIsEEEEvT1_mT2_T3_,comdat
	.protected	_ZN7rocprim17ROCPRIM_304000_NS6detail16transform_kernelINS1_24wrapped_transform_configINS0_14default_configEsEEsPsS6_NS0_8identityIsEEEEvT1_mT2_T3_ ; -- Begin function _ZN7rocprim17ROCPRIM_304000_NS6detail16transform_kernelINS1_24wrapped_transform_configINS0_14default_configEsEEsPsS6_NS0_8identityIsEEEEvT1_mT2_T3_
	.globl	_ZN7rocprim17ROCPRIM_304000_NS6detail16transform_kernelINS1_24wrapped_transform_configINS0_14default_configEsEEsPsS6_NS0_8identityIsEEEEvT1_mT2_T3_
	.p2align	8
	.type	_ZN7rocprim17ROCPRIM_304000_NS6detail16transform_kernelINS1_24wrapped_transform_configINS0_14default_configEsEEsPsS6_NS0_8identityIsEEEEvT1_mT2_T3_,@function
_ZN7rocprim17ROCPRIM_304000_NS6detail16transform_kernelINS1_24wrapped_transform_configINS0_14default_configEsEEsPsS6_NS0_8identityIsEEEEvT1_mT2_T3_: ; @_ZN7rocprim17ROCPRIM_304000_NS6detail16transform_kernelINS1_24wrapped_transform_configINS0_14default_configEsEEsPsS6_NS0_8identityIsEEEEvT1_mT2_T3_
; %bb.0:
	s_load_dword s7, s[4:5], 0x20
	s_load_dwordx4 s[0:3], s[4:5], 0x0
	s_load_dwordx2 s[8:9], s[4:5], 0x10
	s_lshl_b32 s4, s6, 11
	s_mov_b32 s5, 0
	s_waitcnt lgkmcnt(0)
	s_add_i32 s7, s7, -1
	s_lshl_b64 s[10:11], s[4:5], 1
	s_add_u32 s0, s0, s10
	s_addc_u32 s1, s1, s11
	v_lshlrev_b32_e32 v5, 1, v0
	v_mov_b32_e32 v1, s1
	v_add_co_u32_e32 v3, vcc, s0, v5
	s_cmp_lg_u32 s6, s7
	v_addc_co_u32_e32 v4, vcc, 0, v1, vcc
	s_cbranch_scc0 .LBB40_2
; %bb.1:
	global_load_ushort v2, v[3:4], off
	global_load_ushort v6, v[3:4], off offset:1024
	global_load_ushort v7, v[3:4], off offset:2048
	global_load_ushort v1, v[3:4], off offset:3072
	s_add_u32 s6, s8, s10
	s_addc_u32 s7, s9, s11
	s_mov_b64 s[12:13], -1
	s_waitcnt vmcnt(3)
	global_store_short v5, v2, s[6:7]
	s_waitcnt vmcnt(3)
	global_store_short v5, v6, s[6:7] offset:1024
	s_waitcnt vmcnt(3)
	global_store_short v5, v7, s[6:7] offset:2048
	s_cbranch_execz .LBB40_3
	s_branch .LBB40_17
.LBB40_2:
	s_mov_b64 s[12:13], 0
                                        ; implicit-def: $vgpr1
.LBB40_3:
	s_sub_i32 s6, s2, s4
	s_waitcnt vmcnt(3)
	v_mov_b32_e32 v1, 0
	v_cmp_gt_u32_e32 vcc, s6, v0
	v_mov_b32_e32 v2, v1
	s_and_saveexec_b64 s[0:1], vcc
	s_cbranch_execz .LBB40_5
; %bb.4:
	global_load_ushort v2, v[3:4], off
	v_mov_b32_e32 v7, v1
	s_waitcnt vmcnt(0)
	v_and_b32_e32 v6, 0xffff, v2
	v_mov_b32_e32 v1, v6
	v_mov_b32_e32 v2, v7
.LBB40_5:
	s_or_b64 exec, exec, s[0:1]
	v_or_b32_e32 v6, 0x200, v0
	v_cmp_gt_u32_e64 s[0:1], s6, v6
	s_and_saveexec_b64 s[2:3], s[0:1]
	s_cbranch_execz .LBB40_7
; %bb.6:
	global_load_ushort v6, v[3:4], off offset:1024
	s_mov_b32 s4, 0x5040100
	s_waitcnt vmcnt(0)
	v_perm_b32 v1, v6, v1, s4
.LBB40_7:
	s_or_b64 exec, exec, s[2:3]
	v_or_b32_e32 v6, 0x400, v0
	v_cmp_gt_u32_e64 s[2:3], s6, v6
	s_and_saveexec_b64 s[4:5], s[2:3]
	s_cbranch_execz .LBB40_9
; %bb.8:
	global_load_ushort v6, v[3:4], off offset:2048
	s_mov_b32 s7, 0xffff
	s_waitcnt vmcnt(0)
	v_bfi_b32 v2, s7, v6, v2
.LBB40_9:
	s_or_b64 exec, exec, s[4:5]
	v_or_b32_e32 v0, 0x600, v0
	v_cmp_gt_u32_e64 s[4:5], s6, v0
	s_and_saveexec_b64 s[6:7], s[4:5]
	s_cbranch_execz .LBB40_11
; %bb.10:
	global_load_ushort v0, v[3:4], off offset:3072
	s_mov_b32 s14, 0x5040100
	s_waitcnt vmcnt(0)
	v_perm_b32 v2, v0, v2, s14
.LBB40_11:
	s_or_b64 exec, exec, s[6:7]
	s_add_u32 s6, s8, s10
	s_addc_u32 s7, s9, s11
	v_mov_b32_e32 v0, 0
	v_mov_b32_e32 v4, s7
	v_add_co_u32_e64 v3, s[6:7], s6, v5
	v_cndmask_b32_sdwa v0, v0, v1, vcc dst_sel:DWORD dst_unused:UNUSED_PAD src0_sel:DWORD src1_sel:WORD_0
	v_addc_co_u32_e64 v4, s[6:7], 0, v4, s[6:7]
	s_and_saveexec_b64 s[6:7], vcc
	s_cbranch_execnz .LBB40_20
; %bb.12:
	s_or_b64 exec, exec, s[6:7]
	v_cndmask_b32_e64 v0, v0, v1, s[0:1]
	s_and_saveexec_b64 s[6:7], s[0:1]
	s_cbranch_execnz .LBB40_21
.LBB40_13:
	s_or_b64 exec, exec, s[6:7]
	s_and_saveexec_b64 s[0:1], s[2:3]
	s_cbranch_execnz .LBB40_22
.LBB40_14:
	s_or_b64 exec, exec, s[0:1]
                                        ; implicit-def: $vgpr1
	s_and_saveexec_b64 s[0:1], s[4:5]
.LBB40_15:
	v_cndmask_b32_e64 v0, 0, v2, s[4:5]
	v_lshrrev_b32_e32 v1, 16, v0
	s_or_b64 s[12:13], s[12:13], exec
.LBB40_16:
	s_or_b64 exec, exec, s[0:1]
.LBB40_17:
	s_and_saveexec_b64 s[0:1], s[12:13]
	s_cbranch_execnz .LBB40_19
; %bb.18:
	s_endpgm
.LBB40_19:
	s_add_u32 s0, s8, s10
	s_addc_u32 s1, s9, s11
	s_waitcnt vmcnt(3)
	global_store_short v5, v1, s[0:1] offset:3072
	s_endpgm
.LBB40_20:
	global_store_short v[3:4], v0, off
	s_or_b64 exec, exec, s[6:7]
	v_cndmask_b32_e64 v0, v0, v1, s[0:1]
	s_and_saveexec_b64 s[6:7], s[0:1]
	s_cbranch_execz .LBB40_13
.LBB40_21:
	global_store_short_d16_hi v[3:4], v0, off offset:1024
	s_or_b64 exec, exec, s[6:7]
	s_and_saveexec_b64 s[0:1], s[2:3]
	s_cbranch_execz .LBB40_14
.LBB40_22:
	v_cndmask_b32_e64 v0, 0, v2, s[2:3]
	global_store_short v[3:4], v0, off offset:2048
	s_or_b64 exec, exec, s[0:1]
                                        ; implicit-def: $vgpr1
	s_and_saveexec_b64 s[0:1], s[4:5]
	s_cbranch_execnz .LBB40_15
	s_branch .LBB40_16
	.section	.rodata,"a",@progbits
	.p2align	6, 0x0
	.amdhsa_kernel _ZN7rocprim17ROCPRIM_304000_NS6detail16transform_kernelINS1_24wrapped_transform_configINS0_14default_configEsEEsPsS6_NS0_8identityIsEEEEvT1_mT2_T3_
		.amdhsa_group_segment_fixed_size 0
		.amdhsa_private_segment_fixed_size 0
		.amdhsa_kernarg_size 288
		.amdhsa_user_sgpr_count 6
		.amdhsa_user_sgpr_private_segment_buffer 1
		.amdhsa_user_sgpr_dispatch_ptr 0
		.amdhsa_user_sgpr_queue_ptr 0
		.amdhsa_user_sgpr_kernarg_segment_ptr 1
		.amdhsa_user_sgpr_dispatch_id 0
		.amdhsa_user_sgpr_flat_scratch_init 0
		.amdhsa_user_sgpr_private_segment_size 0
		.amdhsa_uses_dynamic_stack 0
		.amdhsa_system_sgpr_private_segment_wavefront_offset 0
		.amdhsa_system_sgpr_workgroup_id_x 1
		.amdhsa_system_sgpr_workgroup_id_y 0
		.amdhsa_system_sgpr_workgroup_id_z 0
		.amdhsa_system_sgpr_workgroup_info 0
		.amdhsa_system_vgpr_workitem_id 0
		.amdhsa_next_free_vgpr 8
		.amdhsa_next_free_sgpr 15
		.amdhsa_reserve_vcc 1
		.amdhsa_reserve_flat_scratch 0
		.amdhsa_float_round_mode_32 0
		.amdhsa_float_round_mode_16_64 0
		.amdhsa_float_denorm_mode_32 3
		.amdhsa_float_denorm_mode_16_64 3
		.amdhsa_dx10_clamp 1
		.amdhsa_ieee_mode 1
		.amdhsa_fp16_overflow 0
		.amdhsa_exception_fp_ieee_invalid_op 0
		.amdhsa_exception_fp_denorm_src 0
		.amdhsa_exception_fp_ieee_div_zero 0
		.amdhsa_exception_fp_ieee_overflow 0
		.amdhsa_exception_fp_ieee_underflow 0
		.amdhsa_exception_fp_ieee_inexact 0
		.amdhsa_exception_int_div_zero 0
	.end_amdhsa_kernel
	.section	.text._ZN7rocprim17ROCPRIM_304000_NS6detail16transform_kernelINS1_24wrapped_transform_configINS0_14default_configEsEEsPsS6_NS0_8identityIsEEEEvT1_mT2_T3_,"axG",@progbits,_ZN7rocprim17ROCPRIM_304000_NS6detail16transform_kernelINS1_24wrapped_transform_configINS0_14default_configEsEEsPsS6_NS0_8identityIsEEEEvT1_mT2_T3_,comdat
.Lfunc_end40:
	.size	_ZN7rocprim17ROCPRIM_304000_NS6detail16transform_kernelINS1_24wrapped_transform_configINS0_14default_configEsEEsPsS6_NS0_8identityIsEEEEvT1_mT2_T3_, .Lfunc_end40-_ZN7rocprim17ROCPRIM_304000_NS6detail16transform_kernelINS1_24wrapped_transform_configINS0_14default_configEsEEsPsS6_NS0_8identityIsEEEEvT1_mT2_T3_
                                        ; -- End function
	.set _ZN7rocprim17ROCPRIM_304000_NS6detail16transform_kernelINS1_24wrapped_transform_configINS0_14default_configEsEEsPsS6_NS0_8identityIsEEEEvT1_mT2_T3_.num_vgpr, 8
	.set _ZN7rocprim17ROCPRIM_304000_NS6detail16transform_kernelINS1_24wrapped_transform_configINS0_14default_configEsEEsPsS6_NS0_8identityIsEEEEvT1_mT2_T3_.num_agpr, 0
	.set _ZN7rocprim17ROCPRIM_304000_NS6detail16transform_kernelINS1_24wrapped_transform_configINS0_14default_configEsEEsPsS6_NS0_8identityIsEEEEvT1_mT2_T3_.numbered_sgpr, 15
	.set _ZN7rocprim17ROCPRIM_304000_NS6detail16transform_kernelINS1_24wrapped_transform_configINS0_14default_configEsEEsPsS6_NS0_8identityIsEEEEvT1_mT2_T3_.num_named_barrier, 0
	.set _ZN7rocprim17ROCPRIM_304000_NS6detail16transform_kernelINS1_24wrapped_transform_configINS0_14default_configEsEEsPsS6_NS0_8identityIsEEEEvT1_mT2_T3_.private_seg_size, 0
	.set _ZN7rocprim17ROCPRIM_304000_NS6detail16transform_kernelINS1_24wrapped_transform_configINS0_14default_configEsEEsPsS6_NS0_8identityIsEEEEvT1_mT2_T3_.uses_vcc, 1
	.set _ZN7rocprim17ROCPRIM_304000_NS6detail16transform_kernelINS1_24wrapped_transform_configINS0_14default_configEsEEsPsS6_NS0_8identityIsEEEEvT1_mT2_T3_.uses_flat_scratch, 0
	.set _ZN7rocprim17ROCPRIM_304000_NS6detail16transform_kernelINS1_24wrapped_transform_configINS0_14default_configEsEEsPsS6_NS0_8identityIsEEEEvT1_mT2_T3_.has_dyn_sized_stack, 0
	.set _ZN7rocprim17ROCPRIM_304000_NS6detail16transform_kernelINS1_24wrapped_transform_configINS0_14default_configEsEEsPsS6_NS0_8identityIsEEEEvT1_mT2_T3_.has_recursion, 0
	.set _ZN7rocprim17ROCPRIM_304000_NS6detail16transform_kernelINS1_24wrapped_transform_configINS0_14default_configEsEEsPsS6_NS0_8identityIsEEEEvT1_mT2_T3_.has_indirect_call, 0
	.section	.AMDGPU.csdata,"",@progbits
; Kernel info:
; codeLenInByte = 624
; TotalNumSgprs: 19
; NumVgprs: 8
; ScratchSize: 0
; MemoryBound: 0
; FloatMode: 240
; IeeeMode: 1
; LDSByteSize: 0 bytes/workgroup (compile time only)
; SGPRBlocks: 2
; VGPRBlocks: 1
; NumSGPRsForWavesPerEU: 19
; NumVGPRsForWavesPerEU: 8
; Occupancy: 10
; WaveLimiterHint : 1
; COMPUTE_PGM_RSRC2:SCRATCH_EN: 0
; COMPUTE_PGM_RSRC2:USER_SGPR: 6
; COMPUTE_PGM_RSRC2:TRAP_HANDLER: 0
; COMPUTE_PGM_RSRC2:TGID_X_EN: 1
; COMPUTE_PGM_RSRC2:TGID_Y_EN: 0
; COMPUTE_PGM_RSRC2:TGID_Z_EN: 0
; COMPUTE_PGM_RSRC2:TIDIG_COMP_CNT: 0
	.section	.text._ZN7rocprim17ROCPRIM_304000_NS6detail18single_scan_kernelILb0ENS1_19wrapped_scan_configINS0_14default_configEsEEPKsPsSt10multipliesIsEssEEvT1_mT4_T2_T3_,"axG",@progbits,_ZN7rocprim17ROCPRIM_304000_NS6detail18single_scan_kernelILb0ENS1_19wrapped_scan_configINS0_14default_configEsEEPKsPsSt10multipliesIsEssEEvT1_mT4_T2_T3_,comdat
	.protected	_ZN7rocprim17ROCPRIM_304000_NS6detail18single_scan_kernelILb0ENS1_19wrapped_scan_configINS0_14default_configEsEEPKsPsSt10multipliesIsEssEEvT1_mT4_T2_T3_ ; -- Begin function _ZN7rocprim17ROCPRIM_304000_NS6detail18single_scan_kernelILb0ENS1_19wrapped_scan_configINS0_14default_configEsEEPKsPsSt10multipliesIsEssEEvT1_mT4_T2_T3_
	.globl	_ZN7rocprim17ROCPRIM_304000_NS6detail18single_scan_kernelILb0ENS1_19wrapped_scan_configINS0_14default_configEsEEPKsPsSt10multipliesIsEssEEvT1_mT4_T2_T3_
	.p2align	8
	.type	_ZN7rocprim17ROCPRIM_304000_NS6detail18single_scan_kernelILb0ENS1_19wrapped_scan_configINS0_14default_configEsEEPKsPsSt10multipliesIsEssEEvT1_mT4_T2_T3_,@function
_ZN7rocprim17ROCPRIM_304000_NS6detail18single_scan_kernelILb0ENS1_19wrapped_scan_configINS0_14default_configEsEEPKsPsSt10multipliesIsEssEEvT1_mT4_T2_T3_: ; @_ZN7rocprim17ROCPRIM_304000_NS6detail18single_scan_kernelILb0ENS1_19wrapped_scan_configINS0_14default_configEsEEPKsPsSt10multipliesIsEssEEvT1_mT4_T2_T3_
; %bb.0:
	s_load_dwordx4 s[48:51], s[4:5], 0x0
	v_mov_b32_e32 v1, 0
	v_lshlrev_b32_e32 v19, 1, v0
	s_waitcnt lgkmcnt(0)
	global_load_ushort v20, v1, s[48:49]
	v_mov_b32_e32 v1, s49
	v_add_co_u32_e32 v17, vcc, s48, v19
	v_addc_co_u32_e32 v18, vcc, 0, v1, vcc
	v_cmp_gt_u32_e64 s[0:1], s50, v0
	s_waitcnt vmcnt(0)
	v_and_b32_e32 v1, 0xffff, v20
	v_lshl_or_b32 v1, v20, 16, v1
	v_mov_b32_e32 v2, v1
	v_mov_b32_e32 v3, v1
	;; [unrolled: 1-line block ×11, first 2 shown]
	s_and_saveexec_b64 s[2:3], s[0:1]
	s_cbranch_execz .LBB41_2
; %bb.1:
	global_load_ushort v20, v[17:18], off
	s_mov_b32 s6, 0xffff
	v_mov_b32_e32 v3, v1
	v_mov_b32_e32 v4, v1
	v_mov_b32_e32 v5, v1
	v_mov_b32_e32 v6, v1
	v_mov_b32_e32 v7, v1
	v_mov_b32_e32 v8, v1
	v_mov_b32_e32 v9, v1
	v_mov_b32_e32 v10, v1
	v_mov_b32_e32 v11, v1
	v_mov_b32_e32 v12, v1
	v_mov_b32_e32 v13, v1
	s_waitcnt vmcnt(0)
	v_bfi_b32 v2, s6, v20, v1
	v_mov_b32_e32 v1, v2
	v_mov_b32_e32 v2, v3
	v_mov_b32_e32 v3, v4
	v_mov_b32_e32 v4, v5
	v_mov_b32_e32 v5, v6
	v_mov_b32_e32 v6, v7
	v_mov_b32_e32 v7, v8
	v_mov_b32_e32 v8, v9
	v_mov_b32_e32 v9, v10
	v_mov_b32_e32 v10, v11
	v_mov_b32_e32 v11, v12
	v_mov_b32_e32 v12, v13
	v_mov_b32_e32 v13, v14
	v_mov_b32_e32 v14, v15
	v_mov_b32_e32 v15, v16
	v_mov_b32_e32 v16, v17
.LBB41_2:
	s_or_b64 exec, exec, s[2:3]
	v_or_b32_e32 v13, 0x100, v0
	v_cmp_gt_u32_e64 s[2:3], s50, v13
	s_and_saveexec_b64 s[6:7], s[2:3]
	s_cbranch_execz .LBB41_4
; %bb.3:
	global_load_ushort v13, v[17:18], off offset:512
	s_mov_b32 s8, 0x5040100
	s_waitcnt vmcnt(0)
	v_perm_b32 v1, v13, v1, s8
.LBB41_4:
	s_or_b64 exec, exec, s[6:7]
	v_or_b32_e32 v13, 0x200, v0
	v_cmp_gt_u32_e64 s[6:7], s50, v13
	s_and_saveexec_b64 s[8:9], s[6:7]
	s_cbranch_execz .LBB41_6
; %bb.5:
	global_load_ushort v13, v[17:18], off offset:1024
	s_mov_b32 s10, 0xffff
	s_waitcnt vmcnt(0)
	v_bfi_b32 v2, s10, v13, v2
.LBB41_6:
	s_or_b64 exec, exec, s[8:9]
	v_or_b32_e32 v13, 0x300, v0
	v_cmp_gt_u32_e64 s[8:9], s50, v13
	s_and_saveexec_b64 s[10:11], s[8:9]
	s_cbranch_execz .LBB41_8
; %bb.7:
	global_load_ushort v13, v[17:18], off offset:1536
	s_mov_b32 s12, 0x5040100
	s_waitcnt vmcnt(0)
	v_perm_b32 v2, v13, v2, s12
.LBB41_8:
	s_or_b64 exec, exec, s[10:11]
	v_or_b32_e32 v13, 0x400, v0
	v_cmp_gt_u32_e64 s[10:11], s50, v13
	s_and_saveexec_b64 s[12:13], s[10:11]
	s_cbranch_execz .LBB41_10
; %bb.9:
	global_load_ushort v13, v[17:18], off offset:2048
	s_mov_b32 s14, 0xffff
	s_waitcnt vmcnt(0)
	v_bfi_b32 v3, s14, v13, v3
.LBB41_10:
	;; [unrolled: 22-line block ×3, first 2 shown]
	s_or_b64 exec, exec, s[16:17]
	v_or_b32_e32 v13, 0x700, v0
	v_cmp_gt_u32_e64 s[16:17], s50, v13
	s_and_saveexec_b64 s[18:19], s[16:17]
	s_cbranch_execz .LBB41_16
; %bb.15:
	global_load_ushort v13, v[17:18], off offset:3584
	s_mov_b32 s20, 0x5040100
	s_waitcnt vmcnt(0)
	v_perm_b32 v4, v13, v4, s20
.LBB41_16:
	s_or_b64 exec, exec, s[18:19]
	v_or_b32_e32 v13, 0x800, v0
	v_cmp_gt_u32_e64 s[18:19], s50, v13
	s_and_saveexec_b64 s[20:21], s[18:19]
	s_cbranch_execz .LBB41_18
; %bb.17:
	v_add_co_u32_e32 v13, vcc, 0x1000, v17
	v_addc_co_u32_e32 v14, vcc, 0, v18, vcc
	global_load_ushort v13, v[13:14], off
	s_mov_b32 s22, 0xffff
	s_waitcnt vmcnt(0)
	v_bfi_b32 v5, s22, v13, v5
.LBB41_18:
	s_or_b64 exec, exec, s[20:21]
	v_or_b32_e32 v13, 0x900, v0
	v_cmp_gt_u32_e64 s[20:21], s50, v13
	s_and_saveexec_b64 s[22:23], s[20:21]
	s_cbranch_execz .LBB41_20
; %bb.19:
	v_add_co_u32_e32 v13, vcc, 0x1000, v17
	v_addc_co_u32_e32 v14, vcc, 0, v18, vcc
	global_load_ushort v13, v[13:14], off offset:512
	s_mov_b32 s24, 0x5040100
	s_waitcnt vmcnt(0)
	v_perm_b32 v5, v13, v5, s24
.LBB41_20:
	s_or_b64 exec, exec, s[22:23]
	v_or_b32_e32 v13, 0xa00, v0
	v_cmp_gt_u32_e64 s[22:23], s50, v13
	s_and_saveexec_b64 s[24:25], s[22:23]
	s_cbranch_execz .LBB41_22
; %bb.21:
	v_add_co_u32_e32 v13, vcc, 0x1000, v17
	v_addc_co_u32_e32 v14, vcc, 0, v18, vcc
	global_load_ushort v13, v[13:14], off offset:1024
	s_mov_b32 s26, 0xffff
	s_waitcnt vmcnt(0)
	v_bfi_b32 v6, s26, v13, v6
.LBB41_22:
	s_or_b64 exec, exec, s[24:25]
	v_or_b32_e32 v13, 0xb00, v0
	v_cmp_gt_u32_e64 s[24:25], s50, v13
	s_and_saveexec_b64 s[26:27], s[24:25]
	s_cbranch_execz .LBB41_24
; %bb.23:
	v_add_co_u32_e32 v13, vcc, 0x1000, v17
	v_addc_co_u32_e32 v14, vcc, 0, v18, vcc
	global_load_ushort v13, v[13:14], off offset:1536
	s_mov_b32 s28, 0x5040100
	s_waitcnt vmcnt(0)
	v_perm_b32 v6, v13, v6, s28
.LBB41_24:
	s_or_b64 exec, exec, s[26:27]
	v_or_b32_e32 v13, 0xc00, v0
	v_cmp_gt_u32_e64 s[26:27], s50, v13
	s_and_saveexec_b64 s[28:29], s[26:27]
	s_cbranch_execz .LBB41_26
; %bb.25:
	v_add_co_u32_e32 v13, vcc, 0x1000, v17
	v_addc_co_u32_e32 v14, vcc, 0, v18, vcc
	global_load_ushort v13, v[13:14], off offset:2048
	s_mov_b32 s30, 0xffff
	s_waitcnt vmcnt(0)
	v_bfi_b32 v7, s30, v13, v7
.LBB41_26:
	;; [unrolled: 26-line block ×3, first 2 shown]
	s_or_b64 exec, exec, s[34:35]
	v_or_b32_e32 v13, 0xf00, v0
	v_cmp_gt_u32_e64 s[34:35], s50, v13
	s_and_saveexec_b64 s[36:37], s[34:35]
	s_cbranch_execz .LBB41_32
; %bb.31:
	v_add_co_u32_e32 v13, vcc, 0x1000, v17
	v_addc_co_u32_e32 v14, vcc, 0, v18, vcc
	global_load_ushort v13, v[13:14], off offset:3584
	s_mov_b32 s33, 0x5040100
	s_waitcnt vmcnt(0)
	v_perm_b32 v8, v13, v8, s33
.LBB41_32:
	s_or_b64 exec, exec, s[36:37]
	v_or_b32_e32 v13, 0x1000, v0
	v_cmp_gt_u32_e64 s[36:37], s50, v13
	s_and_saveexec_b64 s[38:39], s[36:37]
	s_cbranch_execz .LBB41_34
; %bb.33:
	v_add_co_u32_e32 v13, vcc, 0x2000, v17
	v_addc_co_u32_e32 v14, vcc, 0, v18, vcc
	global_load_ushort v13, v[13:14], off
	s_mov_b32 s33, 0xffff
	s_waitcnt vmcnt(0)
	v_bfi_b32 v9, s33, v13, v9
.LBB41_34:
	s_or_b64 exec, exec, s[38:39]
	v_or_b32_e32 v13, 0x1100, v0
	v_cmp_gt_u32_e64 s[38:39], s50, v13
	s_and_saveexec_b64 s[40:41], s[38:39]
	s_cbranch_execz .LBB41_36
; %bb.35:
	v_add_co_u32_e32 v13, vcc, 0x2000, v17
	v_addc_co_u32_e32 v14, vcc, 0, v18, vcc
	global_load_ushort v13, v[13:14], off offset:512
	s_mov_b32 s33, 0x5040100
	s_waitcnt vmcnt(0)
	v_perm_b32 v9, v13, v9, s33
.LBB41_36:
	s_or_b64 exec, exec, s[40:41]
	v_or_b32_e32 v13, 0x1200, v0
	v_cmp_gt_u32_e64 s[40:41], s50, v13
	s_and_saveexec_b64 s[42:43], s[40:41]
	s_cbranch_execz .LBB41_38
; %bb.37:
	v_add_co_u32_e32 v13, vcc, 0x2000, v17
	v_addc_co_u32_e32 v14, vcc, 0, v18, vcc
	global_load_ushort v13, v[13:14], off offset:1024
	s_mov_b32 s33, 0xffff
	s_waitcnt vmcnt(0)
	v_bfi_b32 v10, s33, v13, v10
.LBB41_38:
	s_or_b64 exec, exec, s[42:43]
	v_or_b32_e32 v13, 0x1300, v0
	v_cmp_gt_u32_e64 s[42:43], s50, v13
	s_and_saveexec_b64 s[44:45], s[42:43]
	s_cbranch_execz .LBB41_40
; %bb.39:
	v_add_co_u32_e32 v13, vcc, 0x2000, v17
	v_addc_co_u32_e32 v14, vcc, 0, v18, vcc
	global_load_ushort v13, v[13:14], off offset:1536
	s_mov_b32 s33, 0x5040100
	s_waitcnt vmcnt(0)
	v_perm_b32 v10, v13, v10, s33
.LBB41_40:
	s_or_b64 exec, exec, s[44:45]
	v_or_b32_e32 v13, 0x1400, v0
	v_cmp_gt_u32_e64 s[44:45], s50, v13
	s_and_saveexec_b64 s[46:47], s[44:45]
	s_cbranch_execz .LBB41_42
; %bb.41:
	v_add_co_u32_e32 v13, vcc, 0x2000, v17
	v_addc_co_u32_e32 v14, vcc, 0, v18, vcc
	global_load_ushort v13, v[13:14], off offset:2048
	s_mov_b32 s33, 0xffff
	s_waitcnt vmcnt(0)
	v_bfi_b32 v11, s33, v13, v11
.LBB41_42:
	;; [unrolled: 26-line block ×3, first 2 shown]
	s_or_b64 exec, exec, s[52:53]
	v_or_b32_e32 v13, 0x1700, v0
	v_cmp_gt_u32_e64 s[50:51], s50, v13
	s_and_saveexec_b64 s[52:53], s[50:51]
	s_cbranch_execz .LBB41_48
; %bb.47:
	v_add_co_u32_e32 v13, vcc, 0x2000, v17
	v_addc_co_u32_e32 v14, vcc, 0, v18, vcc
	global_load_ushort v13, v[13:14], off offset:3584
	s_mov_b32 s33, 0x5040100
	s_waitcnt vmcnt(0)
	v_perm_b32 v12, v13, v12, s33
.LBB41_48:
	s_or_b64 exec, exec, s[52:53]
	ds_write_b16 v19, v20
	ds_write_b16_d16_hi v19, v1 offset:512
	ds_write_b16 v19, v2 offset:1024
	ds_write_b16_d16_hi v19, v2 offset:1536
	ds_write_b16 v19, v3 offset:2048
	;; [unrolled: 2-line block ×11, first 2 shown]
	ds_write_b16_d16_hi v19, v12 offset:11776
	v_mad_u32_u24 v5, v0, 46, v19
	s_waitcnt lgkmcnt(0)
	s_barrier
	ds_read_b128 v[1:4], v5
	ds_read_b128 v[9:12], v5 offset:16
	ds_read_b128 v[5:8], v5 offset:32
	v_lshrrev_b32_e32 v37, 4, v0
	v_and_b32_e32 v37, 14, v37
	s_waitcnt lgkmcnt(2)
	v_mul_lo_u16_sdwa v13, v1, v1 dst_sel:DWORD dst_unused:UNUSED_PAD src0_sel:WORD_1 src1_sel:DWORD
	v_mul_lo_u16_e32 v14, v13, v2
	v_mul_lo_u16_sdwa v16, v14, v2 dst_sel:DWORD dst_unused:UNUSED_PAD src0_sel:DWORD src1_sel:WORD_1
	v_mul_lo_u16_e32 v18, v16, v3
	v_mul_lo_u16_sdwa v21, v18, v3 dst_sel:DWORD dst_unused:UNUSED_PAD src0_sel:DWORD src1_sel:WORD_1
	;; [unrolled: 2-line block ×3, first 2 shown]
	s_waitcnt lgkmcnt(1)
	v_mul_lo_u16_e32 v15, v27, v9
	v_mul_lo_u16_sdwa v17, v15, v9 dst_sel:DWORD dst_unused:UNUSED_PAD src0_sel:DWORD src1_sel:WORD_1
	v_mul_lo_u16_e32 v20, v17, v10
	v_mul_lo_u16_sdwa v23, v20, v10 dst_sel:DWORD dst_unused:UNUSED_PAD src0_sel:DWORD src1_sel:WORD_1
	;; [unrolled: 2-line block ×4, first 2 shown]
	s_waitcnt lgkmcnt(0)
	v_mul_lo_u16_e32 v22, v33, v5
	v_mul_lo_u16_sdwa v25, v22, v5 dst_sel:DWORD dst_unused:UNUSED_PAD src0_sel:DWORD src1_sel:WORD_1
	v_mul_lo_u16_e32 v28, v25, v6
	v_mul_lo_u16_sdwa v30, v28, v6 dst_sel:DWORD dst_unused:UNUSED_PAD src0_sel:DWORD src1_sel:WORD_1
	;; [unrolled: 2-line block ×4, first 2 shown]
	v_add_u32_e32 v37, v19, v37
	v_cmp_gt_u32_e32 vcc, 64, v0
	s_barrier
	ds_write_b16 v37, v36
	s_waitcnt lgkmcnt(0)
	s_barrier
	s_and_saveexec_b64 s[52:53], vcc
	s_cbranch_execz .LBB41_50
; %bb.49:
	v_lshrrev_b32_e32 v37, 2, v0
	v_and_b32_e32 v37, 62, v37
	v_lshl_add_u32 v39, v0, 3, v37
	ds_read_b64 v[37:38], v39
	v_mbcnt_lo_u32_b32 v40, -1, 0
	v_mbcnt_hi_u32_b32 v40, -1, v40
	v_and_b32_e32 v41, 15, v40
	v_cmp_eq_u32_e32 vcc, 0, v41
	s_waitcnt lgkmcnt(0)
	v_mul_lo_u16_sdwa v42, v37, v37 dst_sel:DWORD dst_unused:UNUSED_PAD src0_sel:WORD_1 src1_sel:DWORD
	v_mul_lo_u16_e32 v42, v42, v38
	v_mul_lo_u16_sdwa v42, v42, v38 dst_sel:DWORD dst_unused:UNUSED_PAD src0_sel:DWORD src1_sel:WORD_1
	v_and_b32_e32 v44, 64, v40
	s_mov_b32 s33, 0x5040100
	v_mov_b32_dpp v43, v42 row_shr:1 row_mask:0xf bank_mask:0xf
	v_mul_lo_u16_e32 v43, v42, v43
	v_cndmask_b32_e32 v42, v43, v42, vcc
	v_cmp_lt_u32_e32 vcc, 1, v41
	s_nop 0
	v_mov_b32_dpp v43, v42 row_shr:2 row_mask:0xf bank_mask:0xf
	v_mul_lo_u16_e32 v43, v42, v43
	v_cndmask_b32_e32 v42, v42, v43, vcc
	v_cmp_lt_u32_e32 vcc, 3, v41
	s_nop 0
	;; [unrolled: 5-line block ×3, first 2 shown]
	v_mov_b32_dpp v43, v42 row_shr:8 row_mask:0xf bank_mask:0xf
	v_mul_lo_u16_e32 v43, v42, v43
	v_cndmask_b32_e32 v41, v42, v43, vcc
	v_and_b32_e32 v43, 16, v40
	v_cmp_eq_u32_e32 vcc, 0, v43
	v_mov_b32_dpp v42, v41 row_bcast:15 row_mask:0xf bank_mask:0xf
	v_mul_lo_u16_e32 v42, v41, v42
	v_cndmask_b32_e32 v41, v42, v41, vcc
	v_cmp_lt_u32_e32 vcc, 31, v40
	v_add_u32_e32 v43, -1, v40
	v_mov_b32_dpp v42, v41 row_bcast:31 row_mask:0xf bank_mask:0xf
	v_cndmask_b32_e32 v42, 1, v42, vcc
	v_cmp_lt_i32_e32 vcc, v43, v44
	v_cndmask_b32_e32 v40, v43, v40, vcc
	v_lshlrev_b32_e32 v40, 2, v40
	v_mul_lo_u16_e32 v41, v41, v42
	ds_bpermute_b32 v40, v40, v41
	v_cmp_eq_u32_e32 vcc, 0, v0
	s_waitcnt lgkmcnt(0)
	v_mul_lo_u16_e32 v40, v37, v40
	v_cndmask_b32_e32 v40, v40, v36, vcc
	v_mul_lo_u16_sdwa v37, v40, v37 dst_sel:DWORD dst_unused:UNUSED_PAD src0_sel:DWORD src1_sel:WORD_1
	v_mul_lo_u16_e32 v41, v37, v38
	v_mul_lo_u16_sdwa v38, v41, v38 dst_sel:DWORD dst_unused:UNUSED_PAD src0_sel:DWORD src1_sel:WORD_1
	v_perm_b32 v37, v37, v40, s33
	v_perm_b32 v38, v38, v41, s33
	ds_write_b64 v39, v[37:38]
.LBB41_50:
	s_or_b64 exec, exec, s[52:53]
	v_mul_u32_u24_e32 v37, 46, v0
	v_cmp_ne_u32_e32 vcc, 0, v0
	s_waitcnt lgkmcnt(0)
	s_barrier
	s_and_saveexec_b64 s[52:53], vcc
	s_cbranch_execz .LBB41_52
; %bb.51:
	v_add_u32_e32 v0, -1, v0
	v_lshrrev_b32_e32 v13, 4, v0
	v_and_b32_e32 v13, 0xffffffe, v13
	v_lshl_add_u32 v0, v0, 1, v13
	ds_read_u16 v0, v0
	s_waitcnt lgkmcnt(0)
	v_mul_lo_u16_e32 v0, v0, v1
	v_mul_lo_u16_sdwa v13, v0, v1 dst_sel:DWORD dst_unused:UNUSED_PAD src0_sel:DWORD src1_sel:WORD_1
	v_mul_lo_u16_e32 v14, v13, v2
	v_mul_lo_u16_sdwa v16, v14, v2 dst_sel:DWORD dst_unused:UNUSED_PAD src0_sel:DWORD src1_sel:WORD_1
	;; [unrolled: 2-line block ×12, first 2 shown]
	v_mov_b32_e32 v1, v0
.LBB41_52:
	s_or_b64 exec, exec, s[52:53]
	s_mov_b32 s33, 0x5040100
	v_add_u32_e32 v5, v19, v37
	v_perm_b32 v4, v27, v24, s33
	v_perm_b32 v3, v21, v18, s33
	;; [unrolled: 1-line block ×4, first 2 shown]
	s_barrier
	ds_write_b128 v5, v[1:4]
	v_perm_b32 v3, v33, v31, s33
	v_perm_b32 v2, v29, v26, s33
	;; [unrolled: 1-line block ×4, first 2 shown]
	ds_write_b128 v5, v[0:3] offset:16
	v_perm_b32 v3, v36, v35, s33
	v_perm_b32 v2, v34, v32, s33
	v_perm_b32 v1, v30, v28, s33
	v_perm_b32 v0, v25, v22, s33
	ds_write_b128 v5, v[0:3] offset:32
	s_waitcnt lgkmcnt(0)
	s_barrier
	ds_read_u16 v25, v19 offset:512
	ds_read_u16 v24, v19 offset:1024
	;; [unrolled: 1-line block ×23, first 2 shown]
	s_load_dwordx2 s[4:5], s[4:5], 0x18
	s_waitcnt lgkmcnt(0)
	v_mov_b32_e32 v1, s5
	v_add_co_u32_e32 v0, vcc, s4, v19
	v_addc_co_u32_e32 v1, vcc, 0, v1, vcc
	s_and_saveexec_b64 s[4:5], s[0:1]
	s_cbranch_execnz .LBB41_77
; %bb.53:
	s_or_b64 exec, exec, s[4:5]
	s_and_saveexec_b64 s[0:1], s[2:3]
	s_cbranch_execnz .LBB41_78
.LBB41_54:
	s_or_b64 exec, exec, s[0:1]
	s_and_saveexec_b64 s[0:1], s[6:7]
	s_cbranch_execnz .LBB41_79
.LBB41_55:
	s_or_b64 exec, exec, s[0:1]
	s_and_saveexec_b64 s[0:1], s[8:9]
	s_cbranch_execnz .LBB41_80
.LBB41_56:
	s_or_b64 exec, exec, s[0:1]
	s_and_saveexec_b64 s[0:1], s[10:11]
	s_cbranch_execnz .LBB41_81
.LBB41_57:
	s_or_b64 exec, exec, s[0:1]
	s_and_saveexec_b64 s[0:1], s[12:13]
	s_cbranch_execnz .LBB41_82
.LBB41_58:
	s_or_b64 exec, exec, s[0:1]
	s_and_saveexec_b64 s[0:1], s[14:15]
	s_cbranch_execnz .LBB41_83
.LBB41_59:
	s_or_b64 exec, exec, s[0:1]
	s_and_saveexec_b64 s[0:1], s[16:17]
	s_cbranch_execnz .LBB41_84
.LBB41_60:
	s_or_b64 exec, exec, s[0:1]
	s_and_saveexec_b64 s[0:1], s[18:19]
	s_cbranch_execnz .LBB41_85
.LBB41_61:
	s_or_b64 exec, exec, s[0:1]
	s_and_saveexec_b64 s[0:1], s[20:21]
	s_cbranch_execnz .LBB41_86
.LBB41_62:
	s_or_b64 exec, exec, s[0:1]
	s_and_saveexec_b64 s[0:1], s[22:23]
	s_cbranch_execnz .LBB41_87
.LBB41_63:
	s_or_b64 exec, exec, s[0:1]
	s_and_saveexec_b64 s[0:1], s[24:25]
	s_cbranch_execnz .LBB41_88
.LBB41_64:
	s_or_b64 exec, exec, s[0:1]
	s_and_saveexec_b64 s[0:1], s[26:27]
	s_cbranch_execnz .LBB41_89
.LBB41_65:
	s_or_b64 exec, exec, s[0:1]
	s_and_saveexec_b64 s[0:1], s[28:29]
	s_cbranch_execnz .LBB41_90
.LBB41_66:
	s_or_b64 exec, exec, s[0:1]
	s_and_saveexec_b64 s[0:1], s[30:31]
	s_cbranch_execnz .LBB41_91
.LBB41_67:
	s_or_b64 exec, exec, s[0:1]
	s_and_saveexec_b64 s[0:1], s[34:35]
	s_cbranch_execnz .LBB41_92
.LBB41_68:
	s_or_b64 exec, exec, s[0:1]
	s_and_saveexec_b64 s[0:1], s[36:37]
	s_cbranch_execnz .LBB41_93
.LBB41_69:
	s_or_b64 exec, exec, s[0:1]
	s_and_saveexec_b64 s[0:1], s[38:39]
	s_cbranch_execnz .LBB41_94
.LBB41_70:
	s_or_b64 exec, exec, s[0:1]
	s_and_saveexec_b64 s[0:1], s[40:41]
	s_cbranch_execnz .LBB41_95
.LBB41_71:
	s_or_b64 exec, exec, s[0:1]
	s_and_saveexec_b64 s[0:1], s[42:43]
	s_cbranch_execnz .LBB41_96
.LBB41_72:
	s_or_b64 exec, exec, s[0:1]
	s_and_saveexec_b64 s[0:1], s[44:45]
	s_cbranch_execnz .LBB41_97
.LBB41_73:
	s_or_b64 exec, exec, s[0:1]
	s_and_saveexec_b64 s[0:1], s[46:47]
	s_cbranch_execnz .LBB41_98
.LBB41_74:
	s_or_b64 exec, exec, s[0:1]
	s_and_saveexec_b64 s[0:1], s[48:49]
	s_cbranch_execnz .LBB41_99
.LBB41_75:
	s_or_b64 exec, exec, s[0:1]
	s_and_saveexec_b64 s[0:1], s[50:51]
	s_cbranch_execnz .LBB41_100
.LBB41_76:
	s_endpgm
.LBB41_77:
	ds_read_u16 v19, v19
	s_waitcnt lgkmcnt(0)
	global_store_short v[0:1], v19, off
	s_or_b64 exec, exec, s[4:5]
	s_and_saveexec_b64 s[0:1], s[2:3]
	s_cbranch_execz .LBB41_54
.LBB41_78:
	global_store_short v[0:1], v25, off offset:512
	s_or_b64 exec, exec, s[0:1]
	s_and_saveexec_b64 s[0:1], s[6:7]
	s_cbranch_execz .LBB41_55
.LBB41_79:
	global_store_short v[0:1], v24, off offset:1024
	s_or_b64 exec, exec, s[0:1]
	s_and_saveexec_b64 s[0:1], s[8:9]
	s_cbranch_execz .LBB41_56
.LBB41_80:
	global_store_short v[0:1], v23, off offset:1536
	s_or_b64 exec, exec, s[0:1]
	s_and_saveexec_b64 s[0:1], s[10:11]
	s_cbranch_execz .LBB41_57
.LBB41_81:
	global_store_short v[0:1], v22, off offset:2048
	s_or_b64 exec, exec, s[0:1]
	s_and_saveexec_b64 s[0:1], s[12:13]
	s_cbranch_execz .LBB41_58
.LBB41_82:
	global_store_short v[0:1], v21, off offset:2560
	s_or_b64 exec, exec, s[0:1]
	s_and_saveexec_b64 s[0:1], s[14:15]
	s_cbranch_execz .LBB41_59
.LBB41_83:
	global_store_short v[0:1], v20, off offset:3072
	s_or_b64 exec, exec, s[0:1]
	s_and_saveexec_b64 s[0:1], s[16:17]
	s_cbranch_execz .LBB41_60
.LBB41_84:
	global_store_short v[0:1], v18, off offset:3584
	s_or_b64 exec, exec, s[0:1]
	s_and_saveexec_b64 s[0:1], s[18:19]
	s_cbranch_execz .LBB41_61
.LBB41_85:
	v_add_co_u32_e32 v18, vcc, 0x1000, v0
	v_addc_co_u32_e32 v19, vcc, 0, v1, vcc
	global_store_short v[18:19], v17, off
	s_or_b64 exec, exec, s[0:1]
	s_and_saveexec_b64 s[0:1], s[20:21]
	s_cbranch_execz .LBB41_62
.LBB41_86:
	v_add_co_u32_e32 v17, vcc, 0x1000, v0
	v_addc_co_u32_e32 v18, vcc, 0, v1, vcc
	global_store_short v[17:18], v16, off offset:512
	s_or_b64 exec, exec, s[0:1]
	s_and_saveexec_b64 s[0:1], s[22:23]
	s_cbranch_execz .LBB41_63
.LBB41_87:
	v_add_co_u32_e32 v16, vcc, 0x1000, v0
	v_addc_co_u32_e32 v17, vcc, 0, v1, vcc
	global_store_short v[16:17], v15, off offset:1024
	s_or_b64 exec, exec, s[0:1]
	s_and_saveexec_b64 s[0:1], s[24:25]
	s_cbranch_execz .LBB41_64
.LBB41_88:
	v_add_co_u32_e32 v15, vcc, 0x1000, v0
	v_addc_co_u32_e32 v16, vcc, 0, v1, vcc
	global_store_short v[15:16], v14, off offset:1536
	s_or_b64 exec, exec, s[0:1]
	s_and_saveexec_b64 s[0:1], s[26:27]
	s_cbranch_execz .LBB41_65
.LBB41_89:
	v_add_co_u32_e32 v14, vcc, 0x1000, v0
	v_addc_co_u32_e32 v15, vcc, 0, v1, vcc
	global_store_short v[14:15], v13, off offset:2048
	s_or_b64 exec, exec, s[0:1]
	s_and_saveexec_b64 s[0:1], s[28:29]
	s_cbranch_execz .LBB41_66
.LBB41_90:
	v_add_co_u32_e32 v13, vcc, 0x1000, v0
	v_addc_co_u32_e32 v14, vcc, 0, v1, vcc
	global_store_short v[13:14], v12, off offset:2560
	s_or_b64 exec, exec, s[0:1]
	s_and_saveexec_b64 s[0:1], s[30:31]
	s_cbranch_execz .LBB41_67
.LBB41_91:
	v_add_co_u32_e32 v12, vcc, 0x1000, v0
	v_addc_co_u32_e32 v13, vcc, 0, v1, vcc
	global_store_short v[12:13], v11, off offset:3072
	s_or_b64 exec, exec, s[0:1]
	s_and_saveexec_b64 s[0:1], s[34:35]
	s_cbranch_execz .LBB41_68
.LBB41_92:
	v_add_co_u32_e32 v11, vcc, 0x1000, v0
	v_addc_co_u32_e32 v12, vcc, 0, v1, vcc
	global_store_short v[11:12], v10, off offset:3584
	s_or_b64 exec, exec, s[0:1]
	s_and_saveexec_b64 s[0:1], s[36:37]
	s_cbranch_execz .LBB41_69
.LBB41_93:
	v_add_co_u32_e32 v10, vcc, 0x2000, v0
	v_addc_co_u32_e32 v11, vcc, 0, v1, vcc
	global_store_short v[10:11], v9, off
	s_or_b64 exec, exec, s[0:1]
	s_and_saveexec_b64 s[0:1], s[38:39]
	s_cbranch_execz .LBB41_70
.LBB41_94:
	v_add_co_u32_e32 v9, vcc, 0x2000, v0
	v_addc_co_u32_e32 v10, vcc, 0, v1, vcc
	global_store_short v[9:10], v8, off offset:512
	s_or_b64 exec, exec, s[0:1]
	s_and_saveexec_b64 s[0:1], s[40:41]
	s_cbranch_execz .LBB41_71
.LBB41_95:
	v_add_co_u32_e32 v8, vcc, 0x2000, v0
	v_addc_co_u32_e32 v9, vcc, 0, v1, vcc
	global_store_short v[8:9], v7, off offset:1024
	s_or_b64 exec, exec, s[0:1]
	s_and_saveexec_b64 s[0:1], s[42:43]
	s_cbranch_execz .LBB41_72
.LBB41_96:
	v_add_co_u32_e32 v7, vcc, 0x2000, v0
	v_addc_co_u32_e32 v8, vcc, 0, v1, vcc
	global_store_short v[7:8], v6, off offset:1536
	s_or_b64 exec, exec, s[0:1]
	s_and_saveexec_b64 s[0:1], s[44:45]
	s_cbranch_execz .LBB41_73
.LBB41_97:
	v_add_co_u32_e32 v6, vcc, 0x2000, v0
	v_addc_co_u32_e32 v7, vcc, 0, v1, vcc
	global_store_short v[6:7], v5, off offset:2048
	s_or_b64 exec, exec, s[0:1]
	s_and_saveexec_b64 s[0:1], s[46:47]
	s_cbranch_execz .LBB41_74
.LBB41_98:
	v_add_co_u32_e32 v5, vcc, 0x2000, v0
	v_addc_co_u32_e32 v6, vcc, 0, v1, vcc
	global_store_short v[5:6], v4, off offset:2560
	s_or_b64 exec, exec, s[0:1]
	s_and_saveexec_b64 s[0:1], s[48:49]
	s_cbranch_execz .LBB41_75
.LBB41_99:
	v_add_co_u32_e32 v4, vcc, 0x2000, v0
	v_addc_co_u32_e32 v5, vcc, 0, v1, vcc
	global_store_short v[4:5], v3, off offset:3072
	s_or_b64 exec, exec, s[0:1]
	s_and_saveexec_b64 s[0:1], s[50:51]
	s_cbranch_execz .LBB41_76
.LBB41_100:
	v_add_co_u32_e32 v0, vcc, 0x2000, v0
	v_addc_co_u32_e32 v1, vcc, 0, v1, vcc
	global_store_short v[0:1], v2, off offset:3584
	s_endpgm
	.section	.rodata,"a",@progbits
	.p2align	6, 0x0
	.amdhsa_kernel _ZN7rocprim17ROCPRIM_304000_NS6detail18single_scan_kernelILb0ENS1_19wrapped_scan_configINS0_14default_configEsEEPKsPsSt10multipliesIsEssEEvT1_mT4_T2_T3_
		.amdhsa_group_segment_fixed_size 12288
		.amdhsa_private_segment_fixed_size 0
		.amdhsa_kernarg_size 36
		.amdhsa_user_sgpr_count 6
		.amdhsa_user_sgpr_private_segment_buffer 1
		.amdhsa_user_sgpr_dispatch_ptr 0
		.amdhsa_user_sgpr_queue_ptr 0
		.amdhsa_user_sgpr_kernarg_segment_ptr 1
		.amdhsa_user_sgpr_dispatch_id 0
		.amdhsa_user_sgpr_flat_scratch_init 0
		.amdhsa_user_sgpr_private_segment_size 0
		.amdhsa_uses_dynamic_stack 0
		.amdhsa_system_sgpr_private_segment_wavefront_offset 0
		.amdhsa_system_sgpr_workgroup_id_x 1
		.amdhsa_system_sgpr_workgroup_id_y 0
		.amdhsa_system_sgpr_workgroup_id_z 0
		.amdhsa_system_sgpr_workgroup_info 0
		.amdhsa_system_vgpr_workitem_id 0
		.amdhsa_next_free_vgpr 45
		.amdhsa_next_free_sgpr 98
		.amdhsa_reserve_vcc 1
		.amdhsa_reserve_flat_scratch 0
		.amdhsa_float_round_mode_32 0
		.amdhsa_float_round_mode_16_64 0
		.amdhsa_float_denorm_mode_32 3
		.amdhsa_float_denorm_mode_16_64 3
		.amdhsa_dx10_clamp 1
		.amdhsa_ieee_mode 1
		.amdhsa_fp16_overflow 0
		.amdhsa_exception_fp_ieee_invalid_op 0
		.amdhsa_exception_fp_denorm_src 0
		.amdhsa_exception_fp_ieee_div_zero 0
		.amdhsa_exception_fp_ieee_overflow 0
		.amdhsa_exception_fp_ieee_underflow 0
		.amdhsa_exception_fp_ieee_inexact 0
		.amdhsa_exception_int_div_zero 0
	.end_amdhsa_kernel
	.section	.text._ZN7rocprim17ROCPRIM_304000_NS6detail18single_scan_kernelILb0ENS1_19wrapped_scan_configINS0_14default_configEsEEPKsPsSt10multipliesIsEssEEvT1_mT4_T2_T3_,"axG",@progbits,_ZN7rocprim17ROCPRIM_304000_NS6detail18single_scan_kernelILb0ENS1_19wrapped_scan_configINS0_14default_configEsEEPKsPsSt10multipliesIsEssEEvT1_mT4_T2_T3_,comdat
.Lfunc_end41:
	.size	_ZN7rocprim17ROCPRIM_304000_NS6detail18single_scan_kernelILb0ENS1_19wrapped_scan_configINS0_14default_configEsEEPKsPsSt10multipliesIsEssEEvT1_mT4_T2_T3_, .Lfunc_end41-_ZN7rocprim17ROCPRIM_304000_NS6detail18single_scan_kernelILb0ENS1_19wrapped_scan_configINS0_14default_configEsEEPKsPsSt10multipliesIsEssEEvT1_mT4_T2_T3_
                                        ; -- End function
	.set _ZN7rocprim17ROCPRIM_304000_NS6detail18single_scan_kernelILb0ENS1_19wrapped_scan_configINS0_14default_configEsEEPKsPsSt10multipliesIsEssEEvT1_mT4_T2_T3_.num_vgpr, 45
	.set _ZN7rocprim17ROCPRIM_304000_NS6detail18single_scan_kernelILb0ENS1_19wrapped_scan_configINS0_14default_configEsEEPKsPsSt10multipliesIsEssEEvT1_mT4_T2_T3_.num_agpr, 0
	.set _ZN7rocprim17ROCPRIM_304000_NS6detail18single_scan_kernelILb0ENS1_19wrapped_scan_configINS0_14default_configEsEEPKsPsSt10multipliesIsEssEEvT1_mT4_T2_T3_.numbered_sgpr, 54
	.set _ZN7rocprim17ROCPRIM_304000_NS6detail18single_scan_kernelILb0ENS1_19wrapped_scan_configINS0_14default_configEsEEPKsPsSt10multipliesIsEssEEvT1_mT4_T2_T3_.num_named_barrier, 0
	.set _ZN7rocprim17ROCPRIM_304000_NS6detail18single_scan_kernelILb0ENS1_19wrapped_scan_configINS0_14default_configEsEEPKsPsSt10multipliesIsEssEEvT1_mT4_T2_T3_.private_seg_size, 0
	.set _ZN7rocprim17ROCPRIM_304000_NS6detail18single_scan_kernelILb0ENS1_19wrapped_scan_configINS0_14default_configEsEEPKsPsSt10multipliesIsEssEEvT1_mT4_T2_T3_.uses_vcc, 1
	.set _ZN7rocprim17ROCPRIM_304000_NS6detail18single_scan_kernelILb0ENS1_19wrapped_scan_configINS0_14default_configEsEEPKsPsSt10multipliesIsEssEEvT1_mT4_T2_T3_.uses_flat_scratch, 0
	.set _ZN7rocprim17ROCPRIM_304000_NS6detail18single_scan_kernelILb0ENS1_19wrapped_scan_configINS0_14default_configEsEEPKsPsSt10multipliesIsEssEEvT1_mT4_T2_T3_.has_dyn_sized_stack, 0
	.set _ZN7rocprim17ROCPRIM_304000_NS6detail18single_scan_kernelILb0ENS1_19wrapped_scan_configINS0_14default_configEsEEPKsPsSt10multipliesIsEssEEvT1_mT4_T2_T3_.has_recursion, 0
	.set _ZN7rocprim17ROCPRIM_304000_NS6detail18single_scan_kernelILb0ENS1_19wrapped_scan_configINS0_14default_configEsEEPKsPsSt10multipliesIsEssEEvT1_mT4_T2_T3_.has_indirect_call, 0
	.section	.AMDGPU.csdata,"",@progbits
; Kernel info:
; codeLenInByte = 4000
; TotalNumSgprs: 58
; NumVgprs: 45
; ScratchSize: 0
; MemoryBound: 0
; FloatMode: 240
; IeeeMode: 1
; LDSByteSize: 12288 bytes/workgroup (compile time only)
; SGPRBlocks: 12
; VGPRBlocks: 11
; NumSGPRsForWavesPerEU: 102
; NumVGPRsForWavesPerEU: 45
; Occupancy: 5
; WaveLimiterHint : 0
; COMPUTE_PGM_RSRC2:SCRATCH_EN: 0
; COMPUTE_PGM_RSRC2:USER_SGPR: 6
; COMPUTE_PGM_RSRC2:TRAP_HANDLER: 0
; COMPUTE_PGM_RSRC2:TGID_X_EN: 1
; COMPUTE_PGM_RSRC2:TGID_Y_EN: 0
; COMPUTE_PGM_RSRC2:TGID_Z_EN: 0
; COMPUTE_PGM_RSRC2:TIDIG_COMP_CNT: 0
	.section	.text._ZN2at6native32tensor_kernel_scan_innermost_dimIsSt10multipliesIsEEEvPT_PKS4_jjjS4_T0_,"axG",@progbits,_ZN2at6native32tensor_kernel_scan_innermost_dimIsSt10multipliesIsEEEvPT_PKS4_jjjS4_T0_,comdat
	.protected	_ZN2at6native32tensor_kernel_scan_innermost_dimIsSt10multipliesIsEEEvPT_PKS4_jjjS4_T0_ ; -- Begin function _ZN2at6native32tensor_kernel_scan_innermost_dimIsSt10multipliesIsEEEvPT_PKS4_jjjS4_T0_
	.globl	_ZN2at6native32tensor_kernel_scan_innermost_dimIsSt10multipliesIsEEEvPT_PKS4_jjjS4_T0_
	.p2align	8
	.type	_ZN2at6native32tensor_kernel_scan_innermost_dimIsSt10multipliesIsEEEvPT_PKS4_jjjS4_T0_,@function
_ZN2at6native32tensor_kernel_scan_innermost_dimIsSt10multipliesIsEEEvPT_PKS4_jjjS4_T0_: ; @_ZN2at6native32tensor_kernel_scan_innermost_dimIsSt10multipliesIsEEEvPT_PKS4_jjjS4_T0_
; %bb.0:
	s_load_dwordx8 s[12:19], s[4:5], 0x0
	v_mov_b32_e32 v2, v1
	s_waitcnt lgkmcnt(0)
	s_lshl_b32 s7, 2, s18
	v_mul_lo_u32 v1, s7, v2
	s_mul_hi_u32 s0, s16, s17
	s_cmp_lg_u32 s0, 0
	s_mov_b64 s[0:1], -1
	v_lshl_add_u32 v10, v1, 1, 0
	s_cbranch_scc1 .LBB42_26
; %bb.1:
	s_load_dword s2, s[4:5], 0x2c
	s_add_u32 s0, s4, 32
	s_addc_u32 s1, s5, 0
	s_waitcnt lgkmcnt(0)
	s_lshr_b32 s2, s2, 16
	s_mul_i32 s24, s6, s2
	s_cmp_ge_u32 s24, s16
	s_cbranch_scc1 .LBB42_25
; %bb.2:
	s_load_dword s26, s[0:1], 0x0
	s_lshl_b32 s25, 1, s18
	s_cmp_lg_u32 s17, 0
	s_cselect_b64 s[8:9], -1, 0
	v_lshl_add_u32 v1, v0, 1, v10
	s_lshl_b32 s3, s7, 1
	v_cndmask_b32_e64 v3, 0, 1, s[8:9]
	v_lshl_add_u32 v7, s25, 1, v1
	v_cmp_eq_u32_e64 s[0:1], 0, v0
	v_add3_u32 v8, v10, s3, -2
	s_waitcnt lgkmcnt(0)
	s_mul_i32 s26, s26, s2
	s_add_i32 s27, s18, 1
	v_cmp_ne_u32_e64 s[2:3], 1, v3
	v_mov_b32_e32 v4, 0
	s_branch .LBB42_4
.LBB42_3:                               ;   in Loop: Header=BB42_4 Depth=1
	s_add_i32 s24, s24, s26
	s_cmp_ge_u32 s24, s16
	s_cbranch_scc1 .LBB42_25
.LBB42_4:                               ; =>This Loop Header: Depth=1
                                        ;     Child Loop BB42_7 Depth 2
                                        ;       Child Loop BB42_16 Depth 3
	s_and_b64 vcc, exec, s[2:3]
	s_cbranch_vccnz .LBB42_3
; %bb.5:                                ;   in Loop: Header=BB42_4 Depth=1
	v_add_u32_e32 v14, s24, v2
	v_mul_lo_u32 v3, v14, s17
	v_mov_b32_e32 v11, s15
	v_cmp_le_u32_e64 s[8:9], s16, v14
	s_mov_b32 s28, 0
	v_lshlrev_b64 v[5:6], 1, v[3:4]
	v_mov_b32_e32 v3, s13
	v_add_co_u32_e32 v9, vcc, s14, v5
	v_addc_co_u32_e32 v11, vcc, v11, v6, vcc
	v_add_co_u32_e32 v12, vcc, s12, v5
	v_addc_co_u32_e32 v13, vcc, v3, v6, vcc
	v_cmp_gt_u32_e32 vcc, s16, v14
	v_mov_b32_e32 v14, s19
	s_branch .LBB42_7
.LBB42_6:                               ;   in Loop: Header=BB42_7 Depth=2
	s_or_b64 exec, exec, s[20:21]
	ds_read_u16 v14, v8
	s_add_i32 s28, s28, s7
	s_cmp_ge_u32 s28, s17
	s_waitcnt vmcnt(0) lgkmcnt(0)
	s_barrier
	s_cbranch_scc1 .LBB42_3
.LBB42_7:                               ;   Parent Loop BB42_4 Depth=1
                                        ; =>  This Loop Header: Depth=2
                                        ;       Child Loop BB42_16 Depth 3
	v_add_u32_e32 v3, s28, v0
	v_add_u32_e32 v5, s25, v3
	s_and_saveexec_b64 s[20:21], vcc
	s_cbranch_execz .LBB42_14
; %bb.8:                                ;   in Loop: Header=BB42_7 Depth=2
	v_cmp_gt_u32_e64 s[10:11], s17, v3
	v_mov_b32_e32 v6, s19
	s_and_saveexec_b64 s[22:23], s[10:11]
	s_cbranch_execz .LBB42_10
; %bb.9:                                ;   in Loop: Header=BB42_7 Depth=2
	v_lshlrev_b64 v[15:16], 1, v[3:4]
	v_add_co_u32_e64 v15, s[10:11], v9, v15
	v_addc_co_u32_e64 v16, s[10:11], v11, v16, s[10:11]
	global_load_ushort v6, v[15:16], off
.LBB42_10:                              ;   in Loop: Header=BB42_7 Depth=2
	s_or_b64 exec, exec, s[22:23]
	s_waitcnt vmcnt(0)
	ds_write_b16 v1, v6
	v_cmp_gt_u32_e64 s[10:11], s17, v5
	v_mov_b32_e32 v6, s19
	s_and_saveexec_b64 s[22:23], s[10:11]
	s_cbranch_execz .LBB42_12
; %bb.11:                               ;   in Loop: Header=BB42_7 Depth=2
	v_mov_b32_e32 v6, v4
	v_lshlrev_b64 v[15:16], 1, v[5:6]
	v_add_co_u32_e64 v15, s[10:11], v9, v15
	v_addc_co_u32_e64 v16, s[10:11], v11, v16, s[10:11]
	global_load_ushort v6, v[15:16], off
.LBB42_12:                              ;   in Loop: Header=BB42_7 Depth=2
	s_or_b64 exec, exec, s[22:23]
	s_waitcnt vmcnt(0)
	ds_write_b16 v7, v6
	s_and_b64 exec, exec, s[0:1]
	s_cbranch_execz .LBB42_14
; %bb.13:                               ;   in Loop: Header=BB42_7 Depth=2
	ds_read_u16 v6, v10
	s_waitcnt lgkmcnt(0)
	v_mul_lo_u16_e32 v6, v6, v14
	ds_write_b16 v10, v6
.LBB42_14:                              ;   in Loop: Header=BB42_7 Depth=2
	s_or_b64 exec, exec, s[20:21]
	v_mov_b32_e32 v6, 0
	s_mov_b64 s[20:21], 0
	s_waitcnt lgkmcnt(0)
	s_barrier
	s_branch .LBB42_16
.LBB42_15:                              ;   in Loop: Header=BB42_16 Depth=3
	s_or_b64 exec, exec, s[10:11]
	v_cmp_eq_u32_e64 s[10:11], s27, v6
	s_or_b64 s[20:21], s[10:11], s[20:21]
	s_waitcnt lgkmcnt(0)
	s_barrier
	s_andn2_b64 exec, exec, s[20:21]
	s_cbranch_execz .LBB42_20
.LBB42_16:                              ;   Parent Loop BB42_4 Depth=1
                                        ;     Parent Loop BB42_7 Depth=2
                                        ; =>    This Inner Loop Header: Depth=3
	v_add_u32_e32 v14, 1, v6
	s_and_saveexec_b64 s[10:11], s[8:9]
	s_xor_b64 s[10:11], exec, s[10:11]
; %bb.17:                               ;   in Loop: Header=BB42_16 Depth=3
	v_add_u32_e32 v6, 1, v6
                                        ; implicit-def: $vgpr14
; %bb.18:                               ;   in Loop: Header=BB42_16 Depth=3
	s_andn2_saveexec_b64 s[10:11], s[10:11]
	s_cbranch_execz .LBB42_15
; %bb.19:                               ;   in Loop: Header=BB42_16 Depth=3
	v_lshlrev_b32_e64 v15, v6, 1
	v_lshrrev_b32_e32 v16, v6, v0
	v_lshl_or_b32 v15, v16, v14, v15
	v_bfm_b32 v6, v6, 0
	v_and_b32_e32 v6, v6, v0
	v_lshl_add_u32 v15, v15, 1, v10
	v_lshl_add_u32 v6, v6, 1, v15
	v_add_u32_e32 v15, -2, v15
	ds_read_u16 v16, v6
	ds_read_u16 v15, v15
	s_waitcnt lgkmcnt(0)
	v_mul_lo_u16_e32 v15, v15, v16
	ds_write_b16 v6, v15
	v_mov_b32_e32 v6, v14
	s_branch .LBB42_15
.LBB42_20:                              ;   in Loop: Header=BB42_7 Depth=2
	s_or_b64 exec, exec, s[20:21]
	s_and_saveexec_b64 s[20:21], vcc
	s_cbranch_execz .LBB42_6
; %bb.21:                               ;   in Loop: Header=BB42_7 Depth=2
	v_cmp_gt_u32_e64 s[10:11], s17, v3
	s_and_saveexec_b64 s[22:23], s[10:11]
	s_cbranch_execz .LBB42_23
; %bb.22:                               ;   in Loop: Header=BB42_7 Depth=2
	v_lshlrev_b64 v[14:15], 1, v[3:4]
	ds_read_u16 v3, v1
	v_add_co_u32_e64 v14, s[10:11], v12, v14
	v_addc_co_u32_e64 v15, s[10:11], v13, v15, s[10:11]
	s_waitcnt lgkmcnt(0)
	global_store_short v[14:15], v3, off
.LBB42_23:                              ;   in Loop: Header=BB42_7 Depth=2
	s_or_b64 exec, exec, s[22:23]
	v_cmp_gt_u32_e64 s[10:11], s17, v5
	s_and_b64 exec, exec, s[10:11]
	s_cbranch_execz .LBB42_6
; %bb.24:                               ;   in Loop: Header=BB42_7 Depth=2
	v_mov_b32_e32 v6, v4
	ds_read_u16 v3, v7
	v_lshlrev_b64 v[5:6], 1, v[5:6]
	v_add_co_u32_e64 v5, s[10:11], v12, v5
	v_addc_co_u32_e64 v6, s[10:11], v13, v6, s[10:11]
	s_waitcnt lgkmcnt(0)
	global_store_short v[5:6], v3, off
	s_branch .LBB42_6
.LBB42_25:
	s_mov_b64 s[0:1], 0
.LBB42_26:
	s_andn2_b64 vcc, exec, s[0:1]
	s_cbranch_vccnz .LBB42_53
; %bb.27:
	s_load_dword s2, s[4:5], 0x2c
	s_add_u32 s0, s4, 32
	s_mov_b32 s8, s16
	s_mov_b32 s9, 0
	s_addc_u32 s1, s5, 0
	s_waitcnt lgkmcnt(0)
	s_lshr_b32 s2, s2, 16
	v_mov_b32_e32 v3, s8
	s_mul_hi_u32 s11, s2, s6
	s_mul_i32 s10, s2, s6
	v_mov_b32_e32 v4, s9
	v_cmp_ge_u64_e32 vcc, s[10:11], v[3:4]
	s_cbranch_vccnz .LBB42_53
; %bb.28:
	s_lshl_b32 s20, 1, s18
	s_load_dword s5, s[0:1], 0x0
	s_and_b32 s4, 0xffff, s2
	s_ashr_i32 s21, s20, 31
	s_cmp_lg_u32 s17, 0
	s_mov_b32 s22, s17
	s_cselect_b64 s[2:3], -1, 0
	s_lshl_b64 s[16:17], s[20:21], 1
	v_lshl_add_u32 v11, v0, 1, v10
	s_lshl_b32 s6, s16, 1
	v_cndmask_b32_e64 v3, 0, 1, s[2:3]
	v_mov_b32_e32 v1, 0
	s_mov_b32 s23, s9
	v_lshl_add_u32 v12, s20, 1, v11
	v_cmp_eq_u32_e64 s[0:1], 0, v0
	v_add3_u32 v13, v10, s6, -2
	s_waitcnt lgkmcnt(0)
	s_mul_i32 s33, s5, s4
	s_add_i32 s18, s18, 1
	v_cmp_ne_u32_e64 s[2:3], 1, v3
	s_branch .LBB42_30
.LBB42_29:                              ;   in Loop: Header=BB42_30 Depth=1
	s_add_u32 s10, s10, s33
	v_mov_b32_e32 v3, s8
	s_addc_u32 s11, s11, 0
	v_mov_b32_e32 v4, s9
	v_cmp_ge_u64_e32 vcc, s[10:11], v[3:4]
	s_cbranch_vccnz .LBB42_53
.LBB42_30:                              ; =>This Loop Header: Depth=1
                                        ;     Child Loop BB42_33 Depth 2
                                        ;       Child Loop BB42_43 Depth 3
	s_and_b64 vcc, exec, s[2:3]
	s_cbranch_vccnz .LBB42_29
; %bb.31:                               ;   in Loop: Header=BB42_30 Depth=1
	v_add_co_u32_e32 v3, vcc, s10, v2
	v_mad_u64_u32 v[5:6], s[4:5], v3, s22, 0
	v_mov_b32_e32 v4, s11
	v_addc_co_u32_e32 v4, vcc, 0, v4, vcc
	v_mad_u64_u32 v[6:7], s[4:5], v4, s22, v[6:7]
	v_mov_b32_e32 v7, s15
	v_cmp_gt_u64_e64 s[4:5], s[8:9], v[3:4]
	v_lshlrev_b64 v[5:6], 1, v[5:6]
	v_cmp_le_u64_e64 s[6:7], s[8:9], v[3:4]
	v_add_co_u32_e32 v14, vcc, s14, v5
	v_addc_co_u32_e32 v15, vcc, v7, v6, vcc
	v_mov_b32_e32 v7, s13
	v_add_co_u32_e32 v16, vcc, s12, v5
	v_addc_co_u32_e32 v17, vcc, v7, v6, vcc
	s_mov_b64 s[24:25], 0
	v_mov_b32_e32 v7, s19
	s_branch .LBB42_33
.LBB42_32:                              ;   in Loop: Header=BB42_33 Depth=2
	s_or_b64 exec, exec, s[26:27]
	ds_read_u16 v7, v13
	s_add_u32 s24, s24, s16
	v_mov_b32_e32 v3, s22
	s_addc_u32 s25, s25, s17
	v_mov_b32_e32 v4, s23
	v_cmp_ge_u64_e32 vcc, s[24:25], v[3:4]
	s_waitcnt lgkmcnt(0)
	s_waitcnt vmcnt(0)
	s_barrier
	s_cbranch_vccnz .LBB42_29
.LBB42_33:                              ;   Parent Loop BB42_30 Depth=1
                                        ; =>  This Loop Header: Depth=2
                                        ;       Child Loop BB42_43 Depth 3
	v_mov_b32_e32 v3, s25
	v_add_co_u32_e32 v5, vcc, s24, v0
	v_addc_co_u32_e32 v6, vcc, 0, v3, vcc
	v_mov_b32_e32 v4, s21
	v_add_co_u32_e32 v3, vcc, s20, v5
	v_addc_co_u32_e32 v4, vcc, v6, v4, vcc
	s_and_saveexec_b64 s[26:27], s[4:5]
	s_cbranch_execz .LBB42_40
; %bb.34:                               ;   in Loop: Header=BB42_33 Depth=2
	v_cmp_gt_u64_e32 vcc, s[22:23], v[5:6]
	v_mov_b32_e32 v8, s19
	s_and_saveexec_b64 s[28:29], vcc
	s_cbranch_execz .LBB42_36
; %bb.35:                               ;   in Loop: Header=BB42_33 Depth=2
	v_lshlrev_b64 v[8:9], 1, v[5:6]
	v_add_co_u32_e32 v8, vcc, v14, v8
	v_addc_co_u32_e32 v9, vcc, v15, v9, vcc
	global_load_ushort v8, v[8:9], off
.LBB42_36:                              ;   in Loop: Header=BB42_33 Depth=2
	s_or_b64 exec, exec, s[28:29]
	v_cmp_gt_u64_e32 vcc, s[22:23], v[3:4]
	s_waitcnt vmcnt(0)
	ds_write_b16 v11, v8
	v_mov_b32_e32 v8, s19
	s_and_saveexec_b64 s[28:29], vcc
	s_cbranch_execz .LBB42_38
; %bb.37:                               ;   in Loop: Header=BB42_33 Depth=2
	v_lshlrev_b64 v[8:9], 1, v[3:4]
	v_add_co_u32_e32 v8, vcc, v14, v8
	v_addc_co_u32_e32 v9, vcc, v15, v9, vcc
	global_load_ushort v8, v[8:9], off
.LBB42_38:                              ;   in Loop: Header=BB42_33 Depth=2
	s_or_b64 exec, exec, s[28:29]
	s_waitcnt vmcnt(0)
	ds_write_b16 v12, v8
	s_and_b64 exec, exec, s[0:1]
	s_cbranch_execz .LBB42_40
; %bb.39:                               ;   in Loop: Header=BB42_33 Depth=2
	ds_read_u16 v8, v10
	s_waitcnt lgkmcnt(0)
	v_mul_lo_u16_e32 v7, v8, v7
	ds_write_b16 v10, v7
.LBB42_40:                              ;   in Loop: Header=BB42_33 Depth=2
	s_or_b64 exec, exec, s[26:27]
	v_mov_b32_e32 v19, 0
	s_mov_b64 s[26:27], 0
	s_waitcnt lgkmcnt(0)
	s_barrier
	s_branch .LBB42_43
.LBB42_41:                              ;   in Loop: Header=BB42_43 Depth=3
	s_or_b64 exec, exec, s[30:31]
	v_lshrrev_b32_e32 v9, v19, v0
	v_lshl_or_b32 v7, v9, v18, v7
	v_lshl_add_u32 v7, v7, 1, v10
	v_lshl_add_u32 v8, v8, 1, v7
	v_add_u32_e32 v7, -2, v7
	ds_read_u16 v9, v8
	ds_read_u16 v7, v7
	s_waitcnt lgkmcnt(0)
	v_mul_lo_u16_e32 v7, v7, v9
	ds_write_b16 v8, v7
.LBB42_42:                              ;   in Loop: Header=BB42_43 Depth=3
	s_or_b64 exec, exec, s[28:29]
	v_cmp_eq_u32_e32 vcc, s18, v18
	s_or_b64 s[26:27], vcc, s[26:27]
	v_mov_b32_e32 v19, v18
	s_waitcnt lgkmcnt(0)
	s_barrier
	s_andn2_b64 exec, exec, s[26:27]
	s_cbranch_execz .LBB42_48
.LBB42_43:                              ;   Parent Loop BB42_30 Depth=1
                                        ;     Parent Loop BB42_33 Depth=2
                                        ; =>    This Inner Loop Header: Depth=3
	v_add_u32_e32 v18, 1, v19
	s_and_saveexec_b64 s[28:29], s[6:7]
	s_xor_b64 s[28:29], exec, s[28:29]
; %bb.44:                               ;   in Loop: Header=BB42_43 Depth=3
	v_add_u32_e32 v18, 1, v19
                                        ; implicit-def: $vgpr19
; %bb.45:                               ;   in Loop: Header=BB42_43 Depth=3
	s_andn2_saveexec_b64 s[28:29], s[28:29]
	s_cbranch_execz .LBB42_42
; %bb.46:                               ;   in Loop: Header=BB42_43 Depth=3
	v_lshlrev_b32_e64 v7, v19, 1
	v_ashrrev_i32_e32 v8, 31, v7
	v_cmp_ge_u64_e32 vcc, v[0:1], v[7:8]
	v_mov_b32_e32 v9, v1
	v_mov_b32_e32 v8, v0
	s_and_saveexec_b64 s[30:31], vcc
	s_cbranch_execz .LBB42_41
; %bb.47:                               ;   in Loop: Header=BB42_43 Depth=3
	v_cvt_f32_u32_e32 v8, v7
	v_sub_u32_e32 v9, 0, v7
	v_rcp_iflag_f32_e32 v8, v8
	v_mul_f32_e32 v8, 0x4f7ffffe, v8
	v_cvt_u32_f32_e32 v8, v8
	v_mul_lo_u32 v9, v9, v8
	v_mul_hi_u32 v9, v8, v9
	v_add_u32_e32 v8, v8, v9
	v_mul_hi_u32 v8, v0, v8
	v_mul_lo_u32 v8, v8, v7
	v_sub_u32_e32 v8, v0, v8
	v_sub_u32_e32 v9, v8, v7
	v_cmp_ge_u32_e32 vcc, v8, v7
	v_cndmask_b32_e32 v8, v8, v9, vcc
	v_sub_u32_e32 v9, v8, v7
	v_cmp_ge_u32_e32 vcc, v8, v7
	v_cndmask_b32_e32 v8, v8, v9, vcc
	s_branch .LBB42_41
.LBB42_48:                              ;   in Loop: Header=BB42_33 Depth=2
	s_or_b64 exec, exec, s[26:27]
	s_and_saveexec_b64 s[26:27], s[4:5]
	s_cbranch_execz .LBB42_32
; %bb.49:                               ;   in Loop: Header=BB42_33 Depth=2
	v_cmp_gt_u64_e32 vcc, s[22:23], v[5:6]
	s_and_saveexec_b64 s[28:29], vcc
	s_cbranch_execz .LBB42_51
; %bb.50:                               ;   in Loop: Header=BB42_33 Depth=2
	ds_read_u16 v7, v11
	v_lshlrev_b64 v[5:6], 1, v[5:6]
	v_add_co_u32_e32 v5, vcc, v16, v5
	v_addc_co_u32_e32 v6, vcc, v17, v6, vcc
	s_waitcnt lgkmcnt(0)
	global_store_short v[5:6], v7, off
.LBB42_51:                              ;   in Loop: Header=BB42_33 Depth=2
	s_or_b64 exec, exec, s[28:29]
	v_cmp_gt_u64_e32 vcc, s[22:23], v[3:4]
	s_and_b64 exec, exec, vcc
	s_cbranch_execz .LBB42_32
; %bb.52:                               ;   in Loop: Header=BB42_33 Depth=2
	ds_read_u16 v5, v12
	v_lshlrev_b64 v[3:4], 1, v[3:4]
	v_add_co_u32_e32 v3, vcc, v16, v3
	v_addc_co_u32_e32 v4, vcc, v17, v4, vcc
	s_waitcnt lgkmcnt(0)
	global_store_short v[3:4], v5, off
	s_branch .LBB42_32
.LBB42_53:
	s_endpgm
	.section	.rodata,"a",@progbits
	.p2align	6, 0x0
	.amdhsa_kernel _ZN2at6native32tensor_kernel_scan_innermost_dimIsSt10multipliesIsEEEvPT_PKS4_jjjS4_T0_
		.amdhsa_group_segment_fixed_size 0
		.amdhsa_private_segment_fixed_size 0
		.amdhsa_kernarg_size 288
		.amdhsa_user_sgpr_count 6
		.amdhsa_user_sgpr_private_segment_buffer 1
		.amdhsa_user_sgpr_dispatch_ptr 0
		.amdhsa_user_sgpr_queue_ptr 0
		.amdhsa_user_sgpr_kernarg_segment_ptr 1
		.amdhsa_user_sgpr_dispatch_id 0
		.amdhsa_user_sgpr_flat_scratch_init 0
		.amdhsa_user_sgpr_private_segment_size 0
		.amdhsa_uses_dynamic_stack 0
		.amdhsa_system_sgpr_private_segment_wavefront_offset 0
		.amdhsa_system_sgpr_workgroup_id_x 1
		.amdhsa_system_sgpr_workgroup_id_y 0
		.amdhsa_system_sgpr_workgroup_id_z 0
		.amdhsa_system_sgpr_workgroup_info 0
		.amdhsa_system_vgpr_workitem_id 1
		.amdhsa_next_free_vgpr 20
		.amdhsa_next_free_sgpr 34
		.amdhsa_reserve_vcc 1
		.amdhsa_reserve_flat_scratch 0
		.amdhsa_float_round_mode_32 0
		.amdhsa_float_round_mode_16_64 0
		.amdhsa_float_denorm_mode_32 3
		.amdhsa_float_denorm_mode_16_64 3
		.amdhsa_dx10_clamp 1
		.amdhsa_ieee_mode 1
		.amdhsa_fp16_overflow 0
		.amdhsa_exception_fp_ieee_invalid_op 0
		.amdhsa_exception_fp_denorm_src 0
		.amdhsa_exception_fp_ieee_div_zero 0
		.amdhsa_exception_fp_ieee_overflow 0
		.amdhsa_exception_fp_ieee_underflow 0
		.amdhsa_exception_fp_ieee_inexact 0
		.amdhsa_exception_int_div_zero 0
	.end_amdhsa_kernel
	.section	.text._ZN2at6native32tensor_kernel_scan_innermost_dimIsSt10multipliesIsEEEvPT_PKS4_jjjS4_T0_,"axG",@progbits,_ZN2at6native32tensor_kernel_scan_innermost_dimIsSt10multipliesIsEEEvPT_PKS4_jjjS4_T0_,comdat
.Lfunc_end42:
	.size	_ZN2at6native32tensor_kernel_scan_innermost_dimIsSt10multipliesIsEEEvPT_PKS4_jjjS4_T0_, .Lfunc_end42-_ZN2at6native32tensor_kernel_scan_innermost_dimIsSt10multipliesIsEEEvPT_PKS4_jjjS4_T0_
                                        ; -- End function
	.set _ZN2at6native32tensor_kernel_scan_innermost_dimIsSt10multipliesIsEEEvPT_PKS4_jjjS4_T0_.num_vgpr, 20
	.set _ZN2at6native32tensor_kernel_scan_innermost_dimIsSt10multipliesIsEEEvPT_PKS4_jjjS4_T0_.num_agpr, 0
	.set _ZN2at6native32tensor_kernel_scan_innermost_dimIsSt10multipliesIsEEEvPT_PKS4_jjjS4_T0_.numbered_sgpr, 34
	.set _ZN2at6native32tensor_kernel_scan_innermost_dimIsSt10multipliesIsEEEvPT_PKS4_jjjS4_T0_.num_named_barrier, 0
	.set _ZN2at6native32tensor_kernel_scan_innermost_dimIsSt10multipliesIsEEEvPT_PKS4_jjjS4_T0_.private_seg_size, 0
	.set _ZN2at6native32tensor_kernel_scan_innermost_dimIsSt10multipliesIsEEEvPT_PKS4_jjjS4_T0_.uses_vcc, 1
	.set _ZN2at6native32tensor_kernel_scan_innermost_dimIsSt10multipliesIsEEEvPT_PKS4_jjjS4_T0_.uses_flat_scratch, 0
	.set _ZN2at6native32tensor_kernel_scan_innermost_dimIsSt10multipliesIsEEEvPT_PKS4_jjjS4_T0_.has_dyn_sized_stack, 0
	.set _ZN2at6native32tensor_kernel_scan_innermost_dimIsSt10multipliesIsEEEvPT_PKS4_jjjS4_T0_.has_recursion, 0
	.set _ZN2at6native32tensor_kernel_scan_innermost_dimIsSt10multipliesIsEEEvPT_PKS4_jjjS4_T0_.has_indirect_call, 0
	.section	.AMDGPU.csdata,"",@progbits
; Kernel info:
; codeLenInByte = 1724
; TotalNumSgprs: 38
; NumVgprs: 20
; ScratchSize: 0
; MemoryBound: 0
; FloatMode: 240
; IeeeMode: 1
; LDSByteSize: 0 bytes/workgroup (compile time only)
; SGPRBlocks: 4
; VGPRBlocks: 4
; NumSGPRsForWavesPerEU: 38
; NumVGPRsForWavesPerEU: 20
; Occupancy: 10
; WaveLimiterHint : 0
; COMPUTE_PGM_RSRC2:SCRATCH_EN: 0
; COMPUTE_PGM_RSRC2:USER_SGPR: 6
; COMPUTE_PGM_RSRC2:TRAP_HANDLER: 0
; COMPUTE_PGM_RSRC2:TGID_X_EN: 1
; COMPUTE_PGM_RSRC2:TGID_Y_EN: 0
; COMPUTE_PGM_RSRC2:TGID_Z_EN: 0
; COMPUTE_PGM_RSRC2:TIDIG_COMP_CNT: 1
	.section	.text._ZN2at6native28tensor_kernel_scan_outer_dimIsjSt10multipliesIsEEEvPT_PKS4_jjjS4_T1_,"axG",@progbits,_ZN2at6native28tensor_kernel_scan_outer_dimIsjSt10multipliesIsEEEvPT_PKS4_jjjS4_T1_,comdat
	.protected	_ZN2at6native28tensor_kernel_scan_outer_dimIsjSt10multipliesIsEEEvPT_PKS4_jjjS4_T1_ ; -- Begin function _ZN2at6native28tensor_kernel_scan_outer_dimIsjSt10multipliesIsEEEvPT_PKS4_jjjS4_T1_
	.globl	_ZN2at6native28tensor_kernel_scan_outer_dimIsjSt10multipliesIsEEEvPT_PKS4_jjjS4_T1_
	.p2align	8
	.type	_ZN2at6native28tensor_kernel_scan_outer_dimIsjSt10multipliesIsEEEvPT_PKS4_jjjS4_T1_,@function
_ZN2at6native28tensor_kernel_scan_outer_dimIsjSt10multipliesIsEEEvPT_PKS4_jjjS4_T1_: ; @_ZN2at6native28tensor_kernel_scan_outer_dimIsjSt10multipliesIsEEEvPT_PKS4_jjjS4_T1_
; %bb.0:
	s_load_dwordx4 s[8:11], s[4:5], 0x10
	s_waitcnt lgkmcnt(0)
	s_cmp_ge_u32 s6, s8
	s_cbranch_scc1 .LBB43_9
; %bb.1:
	s_load_dword s0, s[4:5], 0x2c
	s_load_dwordx4 s[12:15], s[4:5], 0x0
	s_load_dword s28, s[4:5], 0x20
	s_add_u32 s16, s4, 32
	s_addc_u32 s17, s5, 0
	s_waitcnt lgkmcnt(0)
	s_and_b32 s29, s0, 0xffff
	s_cmp_lg_u32 s10, 0
	s_mul_i32 s7, s7, s29
	s_cselect_b64 s[2:3], -1, 0
	s_mul_i32 s4, s6, s10
	v_add_u32_e32 v2, s7, v0
	s_mov_b32 s19, 0
	s_mov_b32 s18, s9
	s_mul_i32 s4, s4, s9
	s_mul_i32 s7, s28, s10
	v_cndmask_b32_e64 v0, 0, 1, s[2:3]
	v_cmp_gt_u32_e64 s[0:1], s9, v2
	s_mul_i32 s7, s7, s9
	s_lshl_b64 s[20:21], s[18:19], 1
	v_cmp_ne_u32_e64 s[2:3], 1, v0
	v_mov_b32_e32 v1, 0
	s_mov_b32 s18, s4
	s_branch .LBB43_3
.LBB43_2:                               ;   in Loop: Header=BB43_3 Depth=1
	s_or_b64 exec, exec, s[22:23]
	s_add_i32 s6, s28, s6
	s_add_i32 s18, s18, s7
	s_cmp_ge_u32 s6, s8
	s_cbranch_scc1 .LBB43_9
.LBB43_3:                               ; =>This Loop Header: Depth=1
                                        ;     Child Loop BB43_6 Depth 2
                                        ;       Child Loop BB43_8 Depth 3
	s_and_saveexec_b64 s[22:23], s[0:1]
	s_cbranch_execz .LBB43_2
; %bb.4:                                ;   in Loop: Header=BB43_3 Depth=1
	s_load_dword s30, s[16:17], 0x4
	s_lshl_b64 s[24:25], s[18:19], 1
	s_mov_b64 s[26:27], 0
	v_mov_b32_e32 v0, v2
	s_waitcnt lgkmcnt(0)
	s_mul_i32 s30, s30, s29
	s_branch .LBB43_6
.LBB43_5:                               ;   in Loop: Header=BB43_6 Depth=2
	v_add_u32_e32 v0, s30, v0
	v_cmp_le_u32_e32 vcc, s9, v0
	s_or_b64 s[26:27], vcc, s[26:27]
	s_andn2_b64 exec, exec, s[26:27]
	s_cbranch_execz .LBB43_2
.LBB43_6:                               ;   Parent Loop BB43_3 Depth=1
                                        ; =>  This Loop Header: Depth=2
                                        ;       Child Loop BB43_8 Depth 3
	s_and_b64 vcc, exec, s[2:3]
	s_cbranch_vccnz .LBB43_5
; %bb.7:                                ;   in Loop: Header=BB43_6 Depth=2
	v_lshlrev_b64 v[3:4], 1, v[0:1]
	v_mov_b32_e32 v5, s25
	v_add_co_u32_e32 v3, vcc, s24, v3
	v_addc_co_u32_e32 v4, vcc, v5, v4, vcc
	v_mov_b32_e32 v5, s11
	s_mov_b32 s31, s10
.LBB43_8:                               ;   Parent Loop BB43_3 Depth=1
                                        ;     Parent Loop BB43_6 Depth=2
                                        ; =>    This Inner Loop Header: Depth=3
	v_mov_b32_e32 v7, s15
	v_add_co_u32_e32 v6, vcc, s14, v3
	v_addc_co_u32_e32 v7, vcc, v7, v4, vcc
	global_load_ushort v8, v[6:7], off
	v_mov_b32_e32 v7, s13
	v_add_co_u32_e32 v6, vcc, s12, v3
	s_add_i32 s31, s31, -1
	v_mov_b32_e32 v9, s21
	v_add_co_u32_e64 v3, s[4:5], s20, v3
	v_addc_co_u32_e32 v7, vcc, v7, v4, vcc
	v_addc_co_u32_e64 v4, vcc, v4, v9, s[4:5]
	s_cmp_eq_u32 s31, 0
	s_waitcnt vmcnt(0)
	v_mul_lo_u16_e32 v5, v8, v5
	global_store_short v[6:7], v5, off
	s_cbranch_scc0 .LBB43_8
	s_branch .LBB43_5
.LBB43_9:
	s_endpgm
	.section	.rodata,"a",@progbits
	.p2align	6, 0x0
	.amdhsa_kernel _ZN2at6native28tensor_kernel_scan_outer_dimIsjSt10multipliesIsEEEvPT_PKS4_jjjS4_T1_
		.amdhsa_group_segment_fixed_size 0
		.amdhsa_private_segment_fixed_size 0
		.amdhsa_kernarg_size 288
		.amdhsa_user_sgpr_count 6
		.amdhsa_user_sgpr_private_segment_buffer 1
		.amdhsa_user_sgpr_dispatch_ptr 0
		.amdhsa_user_sgpr_queue_ptr 0
		.amdhsa_user_sgpr_kernarg_segment_ptr 1
		.amdhsa_user_sgpr_dispatch_id 0
		.amdhsa_user_sgpr_flat_scratch_init 0
		.amdhsa_user_sgpr_private_segment_size 0
		.amdhsa_uses_dynamic_stack 0
		.amdhsa_system_sgpr_private_segment_wavefront_offset 0
		.amdhsa_system_sgpr_workgroup_id_x 1
		.amdhsa_system_sgpr_workgroup_id_y 1
		.amdhsa_system_sgpr_workgroup_id_z 0
		.amdhsa_system_sgpr_workgroup_info 0
		.amdhsa_system_vgpr_workitem_id 0
		.amdhsa_next_free_vgpr 10
		.amdhsa_next_free_sgpr 32
		.amdhsa_reserve_vcc 1
		.amdhsa_reserve_flat_scratch 0
		.amdhsa_float_round_mode_32 0
		.amdhsa_float_round_mode_16_64 0
		.amdhsa_float_denorm_mode_32 3
		.amdhsa_float_denorm_mode_16_64 3
		.amdhsa_dx10_clamp 1
		.amdhsa_ieee_mode 1
		.amdhsa_fp16_overflow 0
		.amdhsa_exception_fp_ieee_invalid_op 0
		.amdhsa_exception_fp_denorm_src 0
		.amdhsa_exception_fp_ieee_div_zero 0
		.amdhsa_exception_fp_ieee_overflow 0
		.amdhsa_exception_fp_ieee_underflow 0
		.amdhsa_exception_fp_ieee_inexact 0
		.amdhsa_exception_int_div_zero 0
	.end_amdhsa_kernel
	.section	.text._ZN2at6native28tensor_kernel_scan_outer_dimIsjSt10multipliesIsEEEvPT_PKS4_jjjS4_T1_,"axG",@progbits,_ZN2at6native28tensor_kernel_scan_outer_dimIsjSt10multipliesIsEEEvPT_PKS4_jjjS4_T1_,comdat
.Lfunc_end43:
	.size	_ZN2at6native28tensor_kernel_scan_outer_dimIsjSt10multipliesIsEEEvPT_PKS4_jjjS4_T1_, .Lfunc_end43-_ZN2at6native28tensor_kernel_scan_outer_dimIsjSt10multipliesIsEEEvPT_PKS4_jjjS4_T1_
                                        ; -- End function
	.set _ZN2at6native28tensor_kernel_scan_outer_dimIsjSt10multipliesIsEEEvPT_PKS4_jjjS4_T1_.num_vgpr, 10
	.set _ZN2at6native28tensor_kernel_scan_outer_dimIsjSt10multipliesIsEEEvPT_PKS4_jjjS4_T1_.num_agpr, 0
	.set _ZN2at6native28tensor_kernel_scan_outer_dimIsjSt10multipliesIsEEEvPT_PKS4_jjjS4_T1_.numbered_sgpr, 32
	.set _ZN2at6native28tensor_kernel_scan_outer_dimIsjSt10multipliesIsEEEvPT_PKS4_jjjS4_T1_.num_named_barrier, 0
	.set _ZN2at6native28tensor_kernel_scan_outer_dimIsjSt10multipliesIsEEEvPT_PKS4_jjjS4_T1_.private_seg_size, 0
	.set _ZN2at6native28tensor_kernel_scan_outer_dimIsjSt10multipliesIsEEEvPT_PKS4_jjjS4_T1_.uses_vcc, 1
	.set _ZN2at6native28tensor_kernel_scan_outer_dimIsjSt10multipliesIsEEEvPT_PKS4_jjjS4_T1_.uses_flat_scratch, 0
	.set _ZN2at6native28tensor_kernel_scan_outer_dimIsjSt10multipliesIsEEEvPT_PKS4_jjjS4_T1_.has_dyn_sized_stack, 0
	.set _ZN2at6native28tensor_kernel_scan_outer_dimIsjSt10multipliesIsEEEvPT_PKS4_jjjS4_T1_.has_recursion, 0
	.set _ZN2at6native28tensor_kernel_scan_outer_dimIsjSt10multipliesIsEEEvPT_PKS4_jjjS4_T1_.has_indirect_call, 0
	.section	.AMDGPU.csdata,"",@progbits
; Kernel info:
; codeLenInByte = 348
; TotalNumSgprs: 36
; NumVgprs: 10
; ScratchSize: 0
; MemoryBound: 0
; FloatMode: 240
; IeeeMode: 1
; LDSByteSize: 0 bytes/workgroup (compile time only)
; SGPRBlocks: 4
; VGPRBlocks: 2
; NumSGPRsForWavesPerEU: 36
; NumVGPRsForWavesPerEU: 10
; Occupancy: 10
; WaveLimiterHint : 0
; COMPUTE_PGM_RSRC2:SCRATCH_EN: 0
; COMPUTE_PGM_RSRC2:USER_SGPR: 6
; COMPUTE_PGM_RSRC2:TRAP_HANDLER: 0
; COMPUTE_PGM_RSRC2:TGID_X_EN: 1
; COMPUTE_PGM_RSRC2:TGID_Y_EN: 1
; COMPUTE_PGM_RSRC2:TGID_Z_EN: 0
; COMPUTE_PGM_RSRC2:TIDIG_COMP_CNT: 0
	.section	.text._ZN2at6native28tensor_kernel_scan_outer_dimIsmSt10multipliesIsEEEvPT_PKS4_jjjS4_T1_,"axG",@progbits,_ZN2at6native28tensor_kernel_scan_outer_dimIsmSt10multipliesIsEEEvPT_PKS4_jjjS4_T1_,comdat
	.protected	_ZN2at6native28tensor_kernel_scan_outer_dimIsmSt10multipliesIsEEEvPT_PKS4_jjjS4_T1_ ; -- Begin function _ZN2at6native28tensor_kernel_scan_outer_dimIsmSt10multipliesIsEEEvPT_PKS4_jjjS4_T1_
	.globl	_ZN2at6native28tensor_kernel_scan_outer_dimIsmSt10multipliesIsEEEvPT_PKS4_jjjS4_T1_
	.p2align	8
	.type	_ZN2at6native28tensor_kernel_scan_outer_dimIsmSt10multipliesIsEEEvPT_PKS4_jjjS4_T1_,@function
_ZN2at6native28tensor_kernel_scan_outer_dimIsmSt10multipliesIsEEEvPT_PKS4_jjjS4_T1_: ; @_ZN2at6native28tensor_kernel_scan_outer_dimIsmSt10multipliesIsEEEvPT_PKS4_jjjS4_T1_
; %bb.0:
	s_load_dwordx4 s[8:11], s[4:5], 0x10
	s_waitcnt lgkmcnt(0)
	s_cmp_ge_u32 s6, s8
	s_cbranch_scc1 .LBB44_9
; %bb.1:
	s_load_dword s0, s[4:5], 0x2c
	s_load_dwordx4 s[12:15], s[4:5], 0x0
	s_load_dword s26, s[4:5], 0x20
	s_add_u32 s16, s4, 32
	s_addc_u32 s17, s5, 0
	s_waitcnt lgkmcnt(0)
	s_and_b32 s27, s0, 0xffff
	s_cmp_lg_u32 s10, 0
	s_mul_i32 s7, s7, s27
	s_cselect_b64 s[4:5], -1, 0
	v_add_u32_e32 v2, s7, v0
	s_mov_b32 s3, 0
	s_mov_b32 s2, s9
	s_mul_hi_u32 s19, s10, s9
	s_mul_i32 s18, s10, s9
	v_cndmask_b32_e64 v0, 0, 1, s[4:5]
	v_cmp_gt_u32_e64 s[0:1], s9, v2
	s_lshl_b64 s[18:19], s[18:19], 1
	s_lshl_b64 s[20:21], s[2:3], 1
	v_cmp_ne_u32_e64 s[2:3], 1, v0
	v_mov_b32_e32 v1, 0
	s_branch .LBB44_3
.LBB44_2:                               ;   in Loop: Header=BB44_3 Depth=1
	s_or_b64 exec, exec, s[22:23]
	s_add_i32 s6, s6, s26
	s_cmp_ge_u32 s6, s8
	s_cbranch_scc1 .LBB44_9
.LBB44_3:                               ; =>This Loop Header: Depth=1
                                        ;     Child Loop BB44_6 Depth 2
                                        ;       Child Loop BB44_8 Depth 3
	s_and_saveexec_b64 s[22:23], s[0:1]
	s_cbranch_execz .LBB44_2
; %bb.4:                                ;   in Loop: Header=BB44_3 Depth=1
	s_load_dword s29, s[16:17], 0x4
	s_mul_i32 s4, s19, s6
	s_mul_hi_u32 s5, s18, s6
	s_mul_i32 s7, s18, s6
	s_add_i32 s28, s5, s4
	s_waitcnt lgkmcnt(0)
	s_mul_i32 s29, s29, s27
	s_mov_b64 s[24:25], 0
	v_mov_b32_e32 v0, v2
	s_branch .LBB44_6
.LBB44_5:                               ;   in Loop: Header=BB44_6 Depth=2
	v_add_u32_e32 v0, s29, v0
	v_cmp_le_u32_e32 vcc, s9, v0
	s_or_b64 s[24:25], vcc, s[24:25]
	s_andn2_b64 exec, exec, s[24:25]
	s_cbranch_execz .LBB44_2
.LBB44_6:                               ;   Parent Loop BB44_3 Depth=1
                                        ; =>  This Loop Header: Depth=2
                                        ;       Child Loop BB44_8 Depth 3
	s_and_b64 vcc, exec, s[2:3]
	s_cbranch_vccnz .LBB44_5
; %bb.7:                                ;   in Loop: Header=BB44_6 Depth=2
	v_lshlrev_b64 v[3:4], 1, v[0:1]
	v_mov_b32_e32 v5, s28
	v_add_co_u32_e32 v3, vcc, s7, v3
	v_addc_co_u32_e32 v4, vcc, v5, v4, vcc
	v_mov_b32_e32 v5, s11
	s_mov_b32 s30, s10
.LBB44_8:                               ;   Parent Loop BB44_3 Depth=1
                                        ;     Parent Loop BB44_6 Depth=2
                                        ; =>    This Inner Loop Header: Depth=3
	v_mov_b32_e32 v7, s15
	v_add_co_u32_e32 v6, vcc, s14, v3
	v_addc_co_u32_e32 v7, vcc, v7, v4, vcc
	global_load_ushort v8, v[6:7], off
	v_mov_b32_e32 v7, s13
	v_add_co_u32_e32 v6, vcc, s12, v3
	s_add_i32 s30, s30, -1
	v_mov_b32_e32 v9, s21
	v_add_co_u32_e64 v3, s[4:5], s20, v3
	v_addc_co_u32_e32 v7, vcc, v7, v4, vcc
	v_addc_co_u32_e64 v4, vcc, v4, v9, s[4:5]
	s_cmp_eq_u32 s30, 0
	s_waitcnt vmcnt(0)
	v_mul_lo_u16_e32 v5, v8, v5
	global_store_short v[6:7], v5, off
	s_cbranch_scc0 .LBB44_8
	s_branch .LBB44_5
.LBB44_9:
	s_endpgm
	.section	.rodata,"a",@progbits
	.p2align	6, 0x0
	.amdhsa_kernel _ZN2at6native28tensor_kernel_scan_outer_dimIsmSt10multipliesIsEEEvPT_PKS4_jjjS4_T1_
		.amdhsa_group_segment_fixed_size 0
		.amdhsa_private_segment_fixed_size 0
		.amdhsa_kernarg_size 288
		.amdhsa_user_sgpr_count 6
		.amdhsa_user_sgpr_private_segment_buffer 1
		.amdhsa_user_sgpr_dispatch_ptr 0
		.amdhsa_user_sgpr_queue_ptr 0
		.amdhsa_user_sgpr_kernarg_segment_ptr 1
		.amdhsa_user_sgpr_dispatch_id 0
		.amdhsa_user_sgpr_flat_scratch_init 0
		.amdhsa_user_sgpr_private_segment_size 0
		.amdhsa_uses_dynamic_stack 0
		.amdhsa_system_sgpr_private_segment_wavefront_offset 0
		.amdhsa_system_sgpr_workgroup_id_x 1
		.amdhsa_system_sgpr_workgroup_id_y 1
		.amdhsa_system_sgpr_workgroup_id_z 0
		.amdhsa_system_sgpr_workgroup_info 0
		.amdhsa_system_vgpr_workitem_id 0
		.amdhsa_next_free_vgpr 10
		.amdhsa_next_free_sgpr 31
		.amdhsa_reserve_vcc 1
		.amdhsa_reserve_flat_scratch 0
		.amdhsa_float_round_mode_32 0
		.amdhsa_float_round_mode_16_64 0
		.amdhsa_float_denorm_mode_32 3
		.amdhsa_float_denorm_mode_16_64 3
		.amdhsa_dx10_clamp 1
		.amdhsa_ieee_mode 1
		.amdhsa_fp16_overflow 0
		.amdhsa_exception_fp_ieee_invalid_op 0
		.amdhsa_exception_fp_denorm_src 0
		.amdhsa_exception_fp_ieee_div_zero 0
		.amdhsa_exception_fp_ieee_overflow 0
		.amdhsa_exception_fp_ieee_underflow 0
		.amdhsa_exception_fp_ieee_inexact 0
		.amdhsa_exception_int_div_zero 0
	.end_amdhsa_kernel
	.section	.text._ZN2at6native28tensor_kernel_scan_outer_dimIsmSt10multipliesIsEEEvPT_PKS4_jjjS4_T1_,"axG",@progbits,_ZN2at6native28tensor_kernel_scan_outer_dimIsmSt10multipliesIsEEEvPT_PKS4_jjjS4_T1_,comdat
.Lfunc_end44:
	.size	_ZN2at6native28tensor_kernel_scan_outer_dimIsmSt10multipliesIsEEEvPT_PKS4_jjjS4_T1_, .Lfunc_end44-_ZN2at6native28tensor_kernel_scan_outer_dimIsmSt10multipliesIsEEEvPT_PKS4_jjjS4_T1_
                                        ; -- End function
	.set _ZN2at6native28tensor_kernel_scan_outer_dimIsmSt10multipliesIsEEEvPT_PKS4_jjjS4_T1_.num_vgpr, 10
	.set _ZN2at6native28tensor_kernel_scan_outer_dimIsmSt10multipliesIsEEEvPT_PKS4_jjjS4_T1_.num_agpr, 0
	.set _ZN2at6native28tensor_kernel_scan_outer_dimIsmSt10multipliesIsEEEvPT_PKS4_jjjS4_T1_.numbered_sgpr, 31
	.set _ZN2at6native28tensor_kernel_scan_outer_dimIsmSt10multipliesIsEEEvPT_PKS4_jjjS4_T1_.num_named_barrier, 0
	.set _ZN2at6native28tensor_kernel_scan_outer_dimIsmSt10multipliesIsEEEvPT_PKS4_jjjS4_T1_.private_seg_size, 0
	.set _ZN2at6native28tensor_kernel_scan_outer_dimIsmSt10multipliesIsEEEvPT_PKS4_jjjS4_T1_.uses_vcc, 1
	.set _ZN2at6native28tensor_kernel_scan_outer_dimIsmSt10multipliesIsEEEvPT_PKS4_jjjS4_T1_.uses_flat_scratch, 0
	.set _ZN2at6native28tensor_kernel_scan_outer_dimIsmSt10multipliesIsEEEvPT_PKS4_jjjS4_T1_.has_dyn_sized_stack, 0
	.set _ZN2at6native28tensor_kernel_scan_outer_dimIsmSt10multipliesIsEEEvPT_PKS4_jjjS4_T1_.has_recursion, 0
	.set _ZN2at6native28tensor_kernel_scan_outer_dimIsmSt10multipliesIsEEEvPT_PKS4_jjjS4_T1_.has_indirect_call, 0
	.section	.AMDGPU.csdata,"",@progbits
; Kernel info:
; codeLenInByte = 348
; TotalNumSgprs: 35
; NumVgprs: 10
; ScratchSize: 0
; MemoryBound: 0
; FloatMode: 240
; IeeeMode: 1
; LDSByteSize: 0 bytes/workgroup (compile time only)
; SGPRBlocks: 4
; VGPRBlocks: 2
; NumSGPRsForWavesPerEU: 35
; NumVGPRsForWavesPerEU: 10
; Occupancy: 10
; WaveLimiterHint : 0
; COMPUTE_PGM_RSRC2:SCRATCH_EN: 0
; COMPUTE_PGM_RSRC2:USER_SGPR: 6
; COMPUTE_PGM_RSRC2:TRAP_HANDLER: 0
; COMPUTE_PGM_RSRC2:TGID_X_EN: 1
; COMPUTE_PGM_RSRC2:TGID_Y_EN: 1
; COMPUTE_PGM_RSRC2:TGID_Z_EN: 0
; COMPUTE_PGM_RSRC2:TIDIG_COMP_CNT: 0
	.section	.text._ZN7rocprim17ROCPRIM_304000_NS6detail31init_lookback_scan_state_kernelINS1_19lookback_scan_stateIdLb1ELb1EEEEEvT_jjPNS5_10value_typeE,"axG",@progbits,_ZN7rocprim17ROCPRIM_304000_NS6detail31init_lookback_scan_state_kernelINS1_19lookback_scan_stateIdLb1ELb1EEEEEvT_jjPNS5_10value_typeE,comdat
	.protected	_ZN7rocprim17ROCPRIM_304000_NS6detail31init_lookback_scan_state_kernelINS1_19lookback_scan_stateIdLb1ELb1EEEEEvT_jjPNS5_10value_typeE ; -- Begin function _ZN7rocprim17ROCPRIM_304000_NS6detail31init_lookback_scan_state_kernelINS1_19lookback_scan_stateIdLb1ELb1EEEEEvT_jjPNS5_10value_typeE
	.globl	_ZN7rocprim17ROCPRIM_304000_NS6detail31init_lookback_scan_state_kernelINS1_19lookback_scan_stateIdLb1ELb1EEEEEvT_jjPNS5_10value_typeE
	.p2align	8
	.type	_ZN7rocprim17ROCPRIM_304000_NS6detail31init_lookback_scan_state_kernelINS1_19lookback_scan_stateIdLb1ELb1EEEEEvT_jjPNS5_10value_typeE,@function
_ZN7rocprim17ROCPRIM_304000_NS6detail31init_lookback_scan_state_kernelINS1_19lookback_scan_stateIdLb1ELb1EEEEEvT_jjPNS5_10value_typeE: ; @_ZN7rocprim17ROCPRIM_304000_NS6detail31init_lookback_scan_state_kernelINS1_19lookback_scan_stateIdLb1ELb1EEEEEvT_jjPNS5_10value_typeE
; %bb.0:
	s_load_dword s7, s[4:5], 0x24
	s_load_dwordx2 s[8:9], s[4:5], 0x10
	s_load_dwordx4 s[0:3], s[4:5], 0x0
	s_waitcnt lgkmcnt(0)
	s_and_b32 s4, s7, 0xffff
	s_mul_i32 s6, s6, s4
	s_cmp_eq_u64 s[8:9], 0
	v_add_u32_e32 v0, s6, v0
	s_cbranch_scc1 .LBB45_10
; %bb.1:
	s_cmp_lt_u32 s3, s2
	s_cselect_b32 s4, s3, 0
	s_mov_b32 s7, 0
	v_cmp_eq_u32_e32 vcc, s4, v0
	s_and_saveexec_b64 s[4:5], vcc
	s_cbranch_execz .LBB45_9
; %bb.2:
	s_add_i32 s6, s3, 64
	s_lshl_b64 s[6:7], s[6:7], 4
	s_add_u32 s12, s0, s6
	s_addc_u32 s13, s1, s7
	v_mov_b32_e32 v1, s12
	v_mov_b32_e32 v2, s13
	;;#ASMSTART
	global_load_dwordx4 v[1:4], v[1:2] off glc	
s_waitcnt vmcnt(0)
	;;#ASMEND
	v_and_b32_e32 v4, 0xff, v3
	v_mov_b32_e32 v5, 0
	v_cmp_eq_u64_e32 vcc, 0, v[4:5]
	s_mov_b64 s[10:11], 0
	s_and_saveexec_b64 s[6:7], vcc
	s_cbranch_execz .LBB45_8
; %bb.3:
	v_mov_b32_e32 v6, s12
	s_mov_b32 s3, 1
	v_mov_b32_e32 v7, s13
.LBB45_4:                               ; =>This Loop Header: Depth=1
                                        ;     Child Loop BB45_5 Depth 2
	s_mov_b32 s12, s3
.LBB45_5:                               ;   Parent Loop BB45_4 Depth=1
                                        ; =>  This Inner Loop Header: Depth=2
	s_add_i32 s12, s12, -1
	s_cmp_eq_u32 s12, 0
	s_sleep 1
	s_cbranch_scc0 .LBB45_5
; %bb.6:                                ;   in Loop: Header=BB45_4 Depth=1
	s_cmp_lt_u32 s3, 32
	;;#ASMSTART
	global_load_dwordx4 v[1:4], v[6:7] off glc	
s_waitcnt vmcnt(0)
	;;#ASMEND
	s_cselect_b64 s[12:13], -1, 0
	v_and_b32_e32 v4, 0xff, v3
	s_cmp_lg_u64 s[12:13], 0
	v_cmp_ne_u64_e32 vcc, 0, v[4:5]
	s_addc_u32 s3, s3, 0
	s_or_b64 s[10:11], vcc, s[10:11]
	s_andn2_b64 exec, exec, s[10:11]
	s_cbranch_execnz .LBB45_4
; %bb.7:
	s_or_b64 exec, exec, s[10:11]
.LBB45_8:
	s_or_b64 exec, exec, s[6:7]
	v_mov_b32_e32 v3, 0
	global_store_dwordx2 v3, v[1:2], s[8:9]
.LBB45_9:
	s_or_b64 exec, exec, s[4:5]
.LBB45_10:
	v_cmp_gt_u32_e32 vcc, s2, v0
	s_and_saveexec_b64 s[2:3], vcc
	s_cbranch_execnz .LBB45_13
; %bb.11:
	s_or_b64 exec, exec, s[2:3]
	v_cmp_gt_u32_e32 vcc, 64, v0
	s_and_saveexec_b64 s[2:3], vcc
	s_cbranch_execnz .LBB45_14
.LBB45_12:
	s_endpgm
.LBB45_13:
	v_add_u32_e32 v1, 64, v0
	v_mov_b32_e32 v2, 0
	v_lshlrev_b64 v[3:4], 4, v[1:2]
	v_mov_b32_e32 v1, s1
	v_add_co_u32_e32 v5, vcc, s0, v3
	v_addc_co_u32_e32 v6, vcc, v1, v4, vcc
	v_mov_b32_e32 v1, v2
	v_mov_b32_e32 v3, v2
	;; [unrolled: 1-line block ×3, first 2 shown]
	global_store_dwordx4 v[5:6], v[1:4], off
	s_or_b64 exec, exec, s[2:3]
	v_cmp_gt_u32_e32 vcc, 64, v0
	s_and_saveexec_b64 s[2:3], vcc
	s_cbranch_execz .LBB45_12
.LBB45_14:
	v_mov_b32_e32 v1, 0
	v_lshlrev_b64 v[2:3], 4, v[0:1]
	v_mov_b32_e32 v0, s1
	v_add_co_u32_e32 v4, vcc, s0, v2
	v_addc_co_u32_e32 v5, vcc, v0, v3, vcc
	v_mov_b32_e32 v2, 0xff
	v_mov_b32_e32 v0, v1
	;; [unrolled: 1-line block ×3, first 2 shown]
	global_store_dwordx4 v[4:5], v[0:3], off
	s_endpgm
	.section	.rodata,"a",@progbits
	.p2align	6, 0x0
	.amdhsa_kernel _ZN7rocprim17ROCPRIM_304000_NS6detail31init_lookback_scan_state_kernelINS1_19lookback_scan_stateIdLb1ELb1EEEEEvT_jjPNS5_10value_typeE
		.amdhsa_group_segment_fixed_size 0
		.amdhsa_private_segment_fixed_size 0
		.amdhsa_kernarg_size 280
		.amdhsa_user_sgpr_count 6
		.amdhsa_user_sgpr_private_segment_buffer 1
		.amdhsa_user_sgpr_dispatch_ptr 0
		.amdhsa_user_sgpr_queue_ptr 0
		.amdhsa_user_sgpr_kernarg_segment_ptr 1
		.amdhsa_user_sgpr_dispatch_id 0
		.amdhsa_user_sgpr_flat_scratch_init 0
		.amdhsa_user_sgpr_private_segment_size 0
		.amdhsa_uses_dynamic_stack 0
		.amdhsa_system_sgpr_private_segment_wavefront_offset 0
		.amdhsa_system_sgpr_workgroup_id_x 1
		.amdhsa_system_sgpr_workgroup_id_y 0
		.amdhsa_system_sgpr_workgroup_id_z 0
		.amdhsa_system_sgpr_workgroup_info 0
		.amdhsa_system_vgpr_workitem_id 0
		.amdhsa_next_free_vgpr 8
		.amdhsa_next_free_sgpr 14
		.amdhsa_reserve_vcc 1
		.amdhsa_reserve_flat_scratch 0
		.amdhsa_float_round_mode_32 0
		.amdhsa_float_round_mode_16_64 0
		.amdhsa_float_denorm_mode_32 3
		.amdhsa_float_denorm_mode_16_64 3
		.amdhsa_dx10_clamp 1
		.amdhsa_ieee_mode 1
		.amdhsa_fp16_overflow 0
		.amdhsa_exception_fp_ieee_invalid_op 0
		.amdhsa_exception_fp_denorm_src 0
		.amdhsa_exception_fp_ieee_div_zero 0
		.amdhsa_exception_fp_ieee_overflow 0
		.amdhsa_exception_fp_ieee_underflow 0
		.amdhsa_exception_fp_ieee_inexact 0
		.amdhsa_exception_int_div_zero 0
	.end_amdhsa_kernel
	.section	.text._ZN7rocprim17ROCPRIM_304000_NS6detail31init_lookback_scan_state_kernelINS1_19lookback_scan_stateIdLb1ELb1EEEEEvT_jjPNS5_10value_typeE,"axG",@progbits,_ZN7rocprim17ROCPRIM_304000_NS6detail31init_lookback_scan_state_kernelINS1_19lookback_scan_stateIdLb1ELb1EEEEEvT_jjPNS5_10value_typeE,comdat
.Lfunc_end45:
	.size	_ZN7rocprim17ROCPRIM_304000_NS6detail31init_lookback_scan_state_kernelINS1_19lookback_scan_stateIdLb1ELb1EEEEEvT_jjPNS5_10value_typeE, .Lfunc_end45-_ZN7rocprim17ROCPRIM_304000_NS6detail31init_lookback_scan_state_kernelINS1_19lookback_scan_stateIdLb1ELb1EEEEEvT_jjPNS5_10value_typeE
                                        ; -- End function
	.set _ZN7rocprim17ROCPRIM_304000_NS6detail31init_lookback_scan_state_kernelINS1_19lookback_scan_stateIdLb1ELb1EEEEEvT_jjPNS5_10value_typeE.num_vgpr, 8
	.set _ZN7rocprim17ROCPRIM_304000_NS6detail31init_lookback_scan_state_kernelINS1_19lookback_scan_stateIdLb1ELb1EEEEEvT_jjPNS5_10value_typeE.num_agpr, 0
	.set _ZN7rocprim17ROCPRIM_304000_NS6detail31init_lookback_scan_state_kernelINS1_19lookback_scan_stateIdLb1ELb1EEEEEvT_jjPNS5_10value_typeE.numbered_sgpr, 14
	.set _ZN7rocprim17ROCPRIM_304000_NS6detail31init_lookback_scan_state_kernelINS1_19lookback_scan_stateIdLb1ELb1EEEEEvT_jjPNS5_10value_typeE.num_named_barrier, 0
	.set _ZN7rocprim17ROCPRIM_304000_NS6detail31init_lookback_scan_state_kernelINS1_19lookback_scan_stateIdLb1ELb1EEEEEvT_jjPNS5_10value_typeE.private_seg_size, 0
	.set _ZN7rocprim17ROCPRIM_304000_NS6detail31init_lookback_scan_state_kernelINS1_19lookback_scan_stateIdLb1ELb1EEEEEvT_jjPNS5_10value_typeE.uses_vcc, 1
	.set _ZN7rocprim17ROCPRIM_304000_NS6detail31init_lookback_scan_state_kernelINS1_19lookback_scan_stateIdLb1ELb1EEEEEvT_jjPNS5_10value_typeE.uses_flat_scratch, 0
	.set _ZN7rocprim17ROCPRIM_304000_NS6detail31init_lookback_scan_state_kernelINS1_19lookback_scan_stateIdLb1ELb1EEEEEvT_jjPNS5_10value_typeE.has_dyn_sized_stack, 0
	.set _ZN7rocprim17ROCPRIM_304000_NS6detail31init_lookback_scan_state_kernelINS1_19lookback_scan_stateIdLb1ELb1EEEEEvT_jjPNS5_10value_typeE.has_recursion, 0
	.set _ZN7rocprim17ROCPRIM_304000_NS6detail31init_lookback_scan_state_kernelINS1_19lookback_scan_stateIdLb1ELb1EEEEEvT_jjPNS5_10value_typeE.has_indirect_call, 0
	.section	.AMDGPU.csdata,"",@progbits
; Kernel info:
; codeLenInByte = 404
; TotalNumSgprs: 18
; NumVgprs: 8
; ScratchSize: 0
; MemoryBound: 0
; FloatMode: 240
; IeeeMode: 1
; LDSByteSize: 0 bytes/workgroup (compile time only)
; SGPRBlocks: 2
; VGPRBlocks: 1
; NumSGPRsForWavesPerEU: 18
; NumVGPRsForWavesPerEU: 8
; Occupancy: 10
; WaveLimiterHint : 0
; COMPUTE_PGM_RSRC2:SCRATCH_EN: 0
; COMPUTE_PGM_RSRC2:USER_SGPR: 6
; COMPUTE_PGM_RSRC2:TRAP_HANDLER: 0
; COMPUTE_PGM_RSRC2:TGID_X_EN: 1
; COMPUTE_PGM_RSRC2:TGID_Y_EN: 0
; COMPUTE_PGM_RSRC2:TGID_Z_EN: 0
; COMPUTE_PGM_RSRC2:TIDIG_COMP_CNT: 0
	.section	.text._ZN7rocprim17ROCPRIM_304000_NS6detail31init_lookback_scan_state_kernelINS1_19lookback_scan_stateIdLb0ELb1EEEEEvT_jjPNS5_10value_typeE,"axG",@progbits,_ZN7rocprim17ROCPRIM_304000_NS6detail31init_lookback_scan_state_kernelINS1_19lookback_scan_stateIdLb0ELb1EEEEEvT_jjPNS5_10value_typeE,comdat
	.protected	_ZN7rocprim17ROCPRIM_304000_NS6detail31init_lookback_scan_state_kernelINS1_19lookback_scan_stateIdLb0ELb1EEEEEvT_jjPNS5_10value_typeE ; -- Begin function _ZN7rocprim17ROCPRIM_304000_NS6detail31init_lookback_scan_state_kernelINS1_19lookback_scan_stateIdLb0ELb1EEEEEvT_jjPNS5_10value_typeE
	.globl	_ZN7rocprim17ROCPRIM_304000_NS6detail31init_lookback_scan_state_kernelINS1_19lookback_scan_stateIdLb0ELb1EEEEEvT_jjPNS5_10value_typeE
	.p2align	8
	.type	_ZN7rocprim17ROCPRIM_304000_NS6detail31init_lookback_scan_state_kernelINS1_19lookback_scan_stateIdLb0ELb1EEEEEvT_jjPNS5_10value_typeE,@function
_ZN7rocprim17ROCPRIM_304000_NS6detail31init_lookback_scan_state_kernelINS1_19lookback_scan_stateIdLb0ELb1EEEEEvT_jjPNS5_10value_typeE: ; @_ZN7rocprim17ROCPRIM_304000_NS6detail31init_lookback_scan_state_kernelINS1_19lookback_scan_stateIdLb0ELb1EEEEEvT_jjPNS5_10value_typeE
; %bb.0:
	s_load_dword s7, s[4:5], 0x24
	s_load_dwordx2 s[8:9], s[4:5], 0x10
	s_load_dwordx4 s[0:3], s[4:5], 0x0
	s_waitcnt lgkmcnt(0)
	s_and_b32 s4, s7, 0xffff
	s_mul_i32 s6, s6, s4
	s_cmp_eq_u64 s[8:9], 0
	v_add_u32_e32 v0, s6, v0
	s_cbranch_scc1 .LBB46_8
; %bb.1:
	s_cmp_lt_u32 s3, s2
	s_cselect_b32 s4, s3, 0
	s_mov_b32 s7, 0
	v_cmp_eq_u32_e32 vcc, s4, v0
	s_and_saveexec_b64 s[4:5], vcc
	s_cbranch_execz .LBB46_7
; %bb.2:
	s_add_i32 s6, s3, 64
	s_lshl_b64 s[6:7], s[6:7], 4
	s_add_u32 s12, s0, s6
	s_addc_u32 s13, s1, s7
	v_mov_b32_e32 v1, s12
	v_mov_b32_e32 v2, s13
	;;#ASMSTART
	global_load_dwordx4 v[1:4], v[1:2] off glc	
s_waitcnt vmcnt(0)
	;;#ASMEND
	v_and_b32_e32 v4, 0xff, v3
	v_mov_b32_e32 v5, 0
	v_cmp_eq_u64_e32 vcc, 0, v[4:5]
	s_mov_b64 s[10:11], 0
	s_and_saveexec_b64 s[6:7], vcc
	s_cbranch_execz .LBB46_6
; %bb.3:
	v_mov_b32_e32 v6, s12
	v_mov_b32_e32 v7, s13
.LBB46_4:                               ; =>This Inner Loop Header: Depth=1
	;;#ASMSTART
	global_load_dwordx4 v[1:4], v[6:7] off glc	
s_waitcnt vmcnt(0)
	;;#ASMEND
	v_and_b32_e32 v4, 0xff, v3
	v_cmp_ne_u64_e32 vcc, 0, v[4:5]
	s_or_b64 s[10:11], vcc, s[10:11]
	s_andn2_b64 exec, exec, s[10:11]
	s_cbranch_execnz .LBB46_4
; %bb.5:
	s_or_b64 exec, exec, s[10:11]
.LBB46_6:
	s_or_b64 exec, exec, s[6:7]
	v_mov_b32_e32 v3, 0
	global_store_dwordx2 v3, v[1:2], s[8:9]
.LBB46_7:
	s_or_b64 exec, exec, s[4:5]
.LBB46_8:
	v_cmp_gt_u32_e32 vcc, s2, v0
	s_and_saveexec_b64 s[2:3], vcc
	s_cbranch_execnz .LBB46_11
; %bb.9:
	s_or_b64 exec, exec, s[2:3]
	v_cmp_gt_u32_e32 vcc, 64, v0
	s_and_saveexec_b64 s[2:3], vcc
	s_cbranch_execnz .LBB46_12
.LBB46_10:
	s_endpgm
.LBB46_11:
	v_add_u32_e32 v1, 64, v0
	v_mov_b32_e32 v2, 0
	v_lshlrev_b64 v[3:4], 4, v[1:2]
	v_mov_b32_e32 v1, s1
	v_add_co_u32_e32 v5, vcc, s0, v3
	v_addc_co_u32_e32 v6, vcc, v1, v4, vcc
	v_mov_b32_e32 v1, v2
	v_mov_b32_e32 v3, v2
	;; [unrolled: 1-line block ×3, first 2 shown]
	global_store_dwordx4 v[5:6], v[1:4], off
	s_or_b64 exec, exec, s[2:3]
	v_cmp_gt_u32_e32 vcc, 64, v0
	s_and_saveexec_b64 s[2:3], vcc
	s_cbranch_execz .LBB46_10
.LBB46_12:
	v_mov_b32_e32 v1, 0
	v_lshlrev_b64 v[2:3], 4, v[0:1]
	v_mov_b32_e32 v0, s1
	v_add_co_u32_e32 v4, vcc, s0, v2
	v_addc_co_u32_e32 v5, vcc, v0, v3, vcc
	v_mov_b32_e32 v2, 0xff
	v_mov_b32_e32 v0, v1
	;; [unrolled: 1-line block ×3, first 2 shown]
	global_store_dwordx4 v[4:5], v[0:3], off
	s_endpgm
	.section	.rodata,"a",@progbits
	.p2align	6, 0x0
	.amdhsa_kernel _ZN7rocprim17ROCPRIM_304000_NS6detail31init_lookback_scan_state_kernelINS1_19lookback_scan_stateIdLb0ELb1EEEEEvT_jjPNS5_10value_typeE
		.amdhsa_group_segment_fixed_size 0
		.amdhsa_private_segment_fixed_size 0
		.amdhsa_kernarg_size 280
		.amdhsa_user_sgpr_count 6
		.amdhsa_user_sgpr_private_segment_buffer 1
		.amdhsa_user_sgpr_dispatch_ptr 0
		.amdhsa_user_sgpr_queue_ptr 0
		.amdhsa_user_sgpr_kernarg_segment_ptr 1
		.amdhsa_user_sgpr_dispatch_id 0
		.amdhsa_user_sgpr_flat_scratch_init 0
		.amdhsa_user_sgpr_private_segment_size 0
		.amdhsa_uses_dynamic_stack 0
		.amdhsa_system_sgpr_private_segment_wavefront_offset 0
		.amdhsa_system_sgpr_workgroup_id_x 1
		.amdhsa_system_sgpr_workgroup_id_y 0
		.amdhsa_system_sgpr_workgroup_id_z 0
		.amdhsa_system_sgpr_workgroup_info 0
		.amdhsa_system_vgpr_workitem_id 0
		.amdhsa_next_free_vgpr 8
		.amdhsa_next_free_sgpr 14
		.amdhsa_reserve_vcc 1
		.amdhsa_reserve_flat_scratch 0
		.amdhsa_float_round_mode_32 0
		.amdhsa_float_round_mode_16_64 0
		.amdhsa_float_denorm_mode_32 3
		.amdhsa_float_denorm_mode_16_64 3
		.amdhsa_dx10_clamp 1
		.amdhsa_ieee_mode 1
		.amdhsa_fp16_overflow 0
		.amdhsa_exception_fp_ieee_invalid_op 0
		.amdhsa_exception_fp_denorm_src 0
		.amdhsa_exception_fp_ieee_div_zero 0
		.amdhsa_exception_fp_ieee_overflow 0
		.amdhsa_exception_fp_ieee_underflow 0
		.amdhsa_exception_fp_ieee_inexact 0
		.amdhsa_exception_int_div_zero 0
	.end_amdhsa_kernel
	.section	.text._ZN7rocprim17ROCPRIM_304000_NS6detail31init_lookback_scan_state_kernelINS1_19lookback_scan_stateIdLb0ELb1EEEEEvT_jjPNS5_10value_typeE,"axG",@progbits,_ZN7rocprim17ROCPRIM_304000_NS6detail31init_lookback_scan_state_kernelINS1_19lookback_scan_stateIdLb0ELb1EEEEEvT_jjPNS5_10value_typeE,comdat
.Lfunc_end46:
	.size	_ZN7rocprim17ROCPRIM_304000_NS6detail31init_lookback_scan_state_kernelINS1_19lookback_scan_stateIdLb0ELb1EEEEEvT_jjPNS5_10value_typeE, .Lfunc_end46-_ZN7rocprim17ROCPRIM_304000_NS6detail31init_lookback_scan_state_kernelINS1_19lookback_scan_stateIdLb0ELb1EEEEEvT_jjPNS5_10value_typeE
                                        ; -- End function
	.set _ZN7rocprim17ROCPRIM_304000_NS6detail31init_lookback_scan_state_kernelINS1_19lookback_scan_stateIdLb0ELb1EEEEEvT_jjPNS5_10value_typeE.num_vgpr, 8
	.set _ZN7rocprim17ROCPRIM_304000_NS6detail31init_lookback_scan_state_kernelINS1_19lookback_scan_stateIdLb0ELb1EEEEEvT_jjPNS5_10value_typeE.num_agpr, 0
	.set _ZN7rocprim17ROCPRIM_304000_NS6detail31init_lookback_scan_state_kernelINS1_19lookback_scan_stateIdLb0ELb1EEEEEvT_jjPNS5_10value_typeE.numbered_sgpr, 14
	.set _ZN7rocprim17ROCPRIM_304000_NS6detail31init_lookback_scan_state_kernelINS1_19lookback_scan_stateIdLb0ELb1EEEEEvT_jjPNS5_10value_typeE.num_named_barrier, 0
	.set _ZN7rocprim17ROCPRIM_304000_NS6detail31init_lookback_scan_state_kernelINS1_19lookback_scan_stateIdLb0ELb1EEEEEvT_jjPNS5_10value_typeE.private_seg_size, 0
	.set _ZN7rocprim17ROCPRIM_304000_NS6detail31init_lookback_scan_state_kernelINS1_19lookback_scan_stateIdLb0ELb1EEEEEvT_jjPNS5_10value_typeE.uses_vcc, 1
	.set _ZN7rocprim17ROCPRIM_304000_NS6detail31init_lookback_scan_state_kernelINS1_19lookback_scan_stateIdLb0ELb1EEEEEvT_jjPNS5_10value_typeE.uses_flat_scratch, 0
	.set _ZN7rocprim17ROCPRIM_304000_NS6detail31init_lookback_scan_state_kernelINS1_19lookback_scan_stateIdLb0ELb1EEEEEvT_jjPNS5_10value_typeE.has_dyn_sized_stack, 0
	.set _ZN7rocprim17ROCPRIM_304000_NS6detail31init_lookback_scan_state_kernelINS1_19lookback_scan_stateIdLb0ELb1EEEEEvT_jjPNS5_10value_typeE.has_recursion, 0
	.set _ZN7rocprim17ROCPRIM_304000_NS6detail31init_lookback_scan_state_kernelINS1_19lookback_scan_stateIdLb0ELb1EEEEEvT_jjPNS5_10value_typeE.has_indirect_call, 0
	.section	.AMDGPU.csdata,"",@progbits
; Kernel info:
; codeLenInByte = 364
; TotalNumSgprs: 18
; NumVgprs: 8
; ScratchSize: 0
; MemoryBound: 0
; FloatMode: 240
; IeeeMode: 1
; LDSByteSize: 0 bytes/workgroup (compile time only)
; SGPRBlocks: 2
; VGPRBlocks: 1
; NumSGPRsForWavesPerEU: 18
; NumVGPRsForWavesPerEU: 8
; Occupancy: 10
; WaveLimiterHint : 0
; COMPUTE_PGM_RSRC2:SCRATCH_EN: 0
; COMPUTE_PGM_RSRC2:USER_SGPR: 6
; COMPUTE_PGM_RSRC2:TRAP_HANDLER: 0
; COMPUTE_PGM_RSRC2:TGID_X_EN: 1
; COMPUTE_PGM_RSRC2:TGID_Y_EN: 0
; COMPUTE_PGM_RSRC2:TGID_Z_EN: 0
; COMPUTE_PGM_RSRC2:TIDIG_COMP_CNT: 0
	.section	.text._ZN7rocprim17ROCPRIM_304000_NS6detail20lookback_scan_kernelILNS1_25lookback_scan_determinismE0ELb0ENS1_19wrapped_scan_configINS0_14default_configEdEEPKdPdSt10multipliesIdEddNS1_19lookback_scan_stateIdLb1ELb1EEEEEvT2_T3_mT5_T4_T7_jPT6_SK_bb,"axG",@progbits,_ZN7rocprim17ROCPRIM_304000_NS6detail20lookback_scan_kernelILNS1_25lookback_scan_determinismE0ELb0ENS1_19wrapped_scan_configINS0_14default_configEdEEPKdPdSt10multipliesIdEddNS1_19lookback_scan_stateIdLb1ELb1EEEEEvT2_T3_mT5_T4_T7_jPT6_SK_bb,comdat
	.protected	_ZN7rocprim17ROCPRIM_304000_NS6detail20lookback_scan_kernelILNS1_25lookback_scan_determinismE0ELb0ENS1_19wrapped_scan_configINS0_14default_configEdEEPKdPdSt10multipliesIdEddNS1_19lookback_scan_stateIdLb1ELb1EEEEEvT2_T3_mT5_T4_T7_jPT6_SK_bb ; -- Begin function _ZN7rocprim17ROCPRIM_304000_NS6detail20lookback_scan_kernelILNS1_25lookback_scan_determinismE0ELb0ENS1_19wrapped_scan_configINS0_14default_configEdEEPKdPdSt10multipliesIdEddNS1_19lookback_scan_stateIdLb1ELb1EEEEEvT2_T3_mT5_T4_T7_jPT6_SK_bb
	.globl	_ZN7rocprim17ROCPRIM_304000_NS6detail20lookback_scan_kernelILNS1_25lookback_scan_determinismE0ELb0ENS1_19wrapped_scan_configINS0_14default_configEdEEPKdPdSt10multipliesIdEddNS1_19lookback_scan_stateIdLb1ELb1EEEEEvT2_T3_mT5_T4_T7_jPT6_SK_bb
	.p2align	8
	.type	_ZN7rocprim17ROCPRIM_304000_NS6detail20lookback_scan_kernelILNS1_25lookback_scan_determinismE0ELb0ENS1_19wrapped_scan_configINS0_14default_configEdEEPKdPdSt10multipliesIdEddNS1_19lookback_scan_stateIdLb1ELb1EEEEEvT2_T3_mT5_T4_T7_jPT6_SK_bb,@function
_ZN7rocprim17ROCPRIM_304000_NS6detail20lookback_scan_kernelILNS1_25lookback_scan_determinismE0ELb0ENS1_19wrapped_scan_configINS0_14default_configEdEEPKdPdSt10multipliesIdEddNS1_19lookback_scan_stateIdLb1ELb1EEEEEvT2_T3_mT5_T4_T7_jPT6_SK_bb: ; @_ZN7rocprim17ROCPRIM_304000_NS6detail20lookback_scan_kernelILNS1_25lookback_scan_determinismE0ELb0ENS1_19wrapped_scan_configINS0_14default_configEdEEPKdPdSt10multipliesIdEddNS1_19lookback_scan_stateIdLb1ELb1EEEEEvT2_T3_mT5_T4_T7_jPT6_SK_bb
; %bb.0:
	s_endpgm
	.section	.rodata,"a",@progbits
	.p2align	6, 0x0
	.amdhsa_kernel _ZN7rocprim17ROCPRIM_304000_NS6detail20lookback_scan_kernelILNS1_25lookback_scan_determinismE0ELb0ENS1_19wrapped_scan_configINS0_14default_configEdEEPKdPdSt10multipliesIdEddNS1_19lookback_scan_stateIdLb1ELb1EEEEEvT2_T3_mT5_T4_T7_jPT6_SK_bb
		.amdhsa_group_segment_fixed_size 0
		.amdhsa_private_segment_fixed_size 0
		.amdhsa_kernarg_size 76
		.amdhsa_user_sgpr_count 6
		.amdhsa_user_sgpr_private_segment_buffer 1
		.amdhsa_user_sgpr_dispatch_ptr 0
		.amdhsa_user_sgpr_queue_ptr 0
		.amdhsa_user_sgpr_kernarg_segment_ptr 1
		.amdhsa_user_sgpr_dispatch_id 0
		.amdhsa_user_sgpr_flat_scratch_init 0
		.amdhsa_user_sgpr_private_segment_size 0
		.amdhsa_uses_dynamic_stack 0
		.amdhsa_system_sgpr_private_segment_wavefront_offset 0
		.amdhsa_system_sgpr_workgroup_id_x 1
		.amdhsa_system_sgpr_workgroup_id_y 0
		.amdhsa_system_sgpr_workgroup_id_z 0
		.amdhsa_system_sgpr_workgroup_info 0
		.amdhsa_system_vgpr_workitem_id 0
		.amdhsa_next_free_vgpr 1
		.amdhsa_next_free_sgpr 0
		.amdhsa_reserve_vcc 0
		.amdhsa_reserve_flat_scratch 0
		.amdhsa_float_round_mode_32 0
		.amdhsa_float_round_mode_16_64 0
		.amdhsa_float_denorm_mode_32 3
		.amdhsa_float_denorm_mode_16_64 3
		.amdhsa_dx10_clamp 1
		.amdhsa_ieee_mode 1
		.amdhsa_fp16_overflow 0
		.amdhsa_exception_fp_ieee_invalid_op 0
		.amdhsa_exception_fp_denorm_src 0
		.amdhsa_exception_fp_ieee_div_zero 0
		.amdhsa_exception_fp_ieee_overflow 0
		.amdhsa_exception_fp_ieee_underflow 0
		.amdhsa_exception_fp_ieee_inexact 0
		.amdhsa_exception_int_div_zero 0
	.end_amdhsa_kernel
	.section	.text._ZN7rocprim17ROCPRIM_304000_NS6detail20lookback_scan_kernelILNS1_25lookback_scan_determinismE0ELb0ENS1_19wrapped_scan_configINS0_14default_configEdEEPKdPdSt10multipliesIdEddNS1_19lookback_scan_stateIdLb1ELb1EEEEEvT2_T3_mT5_T4_T7_jPT6_SK_bb,"axG",@progbits,_ZN7rocprim17ROCPRIM_304000_NS6detail20lookback_scan_kernelILNS1_25lookback_scan_determinismE0ELb0ENS1_19wrapped_scan_configINS0_14default_configEdEEPKdPdSt10multipliesIdEddNS1_19lookback_scan_stateIdLb1ELb1EEEEEvT2_T3_mT5_T4_T7_jPT6_SK_bb,comdat
.Lfunc_end47:
	.size	_ZN7rocprim17ROCPRIM_304000_NS6detail20lookback_scan_kernelILNS1_25lookback_scan_determinismE0ELb0ENS1_19wrapped_scan_configINS0_14default_configEdEEPKdPdSt10multipliesIdEddNS1_19lookback_scan_stateIdLb1ELb1EEEEEvT2_T3_mT5_T4_T7_jPT6_SK_bb, .Lfunc_end47-_ZN7rocprim17ROCPRIM_304000_NS6detail20lookback_scan_kernelILNS1_25lookback_scan_determinismE0ELb0ENS1_19wrapped_scan_configINS0_14default_configEdEEPKdPdSt10multipliesIdEddNS1_19lookback_scan_stateIdLb1ELb1EEEEEvT2_T3_mT5_T4_T7_jPT6_SK_bb
                                        ; -- End function
	.set _ZN7rocprim17ROCPRIM_304000_NS6detail20lookback_scan_kernelILNS1_25lookback_scan_determinismE0ELb0ENS1_19wrapped_scan_configINS0_14default_configEdEEPKdPdSt10multipliesIdEddNS1_19lookback_scan_stateIdLb1ELb1EEEEEvT2_T3_mT5_T4_T7_jPT6_SK_bb.num_vgpr, 0
	.set _ZN7rocprim17ROCPRIM_304000_NS6detail20lookback_scan_kernelILNS1_25lookback_scan_determinismE0ELb0ENS1_19wrapped_scan_configINS0_14default_configEdEEPKdPdSt10multipliesIdEddNS1_19lookback_scan_stateIdLb1ELb1EEEEEvT2_T3_mT5_T4_T7_jPT6_SK_bb.num_agpr, 0
	.set _ZN7rocprim17ROCPRIM_304000_NS6detail20lookback_scan_kernelILNS1_25lookback_scan_determinismE0ELb0ENS1_19wrapped_scan_configINS0_14default_configEdEEPKdPdSt10multipliesIdEddNS1_19lookback_scan_stateIdLb1ELb1EEEEEvT2_T3_mT5_T4_T7_jPT6_SK_bb.numbered_sgpr, 0
	.set _ZN7rocprim17ROCPRIM_304000_NS6detail20lookback_scan_kernelILNS1_25lookback_scan_determinismE0ELb0ENS1_19wrapped_scan_configINS0_14default_configEdEEPKdPdSt10multipliesIdEddNS1_19lookback_scan_stateIdLb1ELb1EEEEEvT2_T3_mT5_T4_T7_jPT6_SK_bb.num_named_barrier, 0
	.set _ZN7rocprim17ROCPRIM_304000_NS6detail20lookback_scan_kernelILNS1_25lookback_scan_determinismE0ELb0ENS1_19wrapped_scan_configINS0_14default_configEdEEPKdPdSt10multipliesIdEddNS1_19lookback_scan_stateIdLb1ELb1EEEEEvT2_T3_mT5_T4_T7_jPT6_SK_bb.private_seg_size, 0
	.set _ZN7rocprim17ROCPRIM_304000_NS6detail20lookback_scan_kernelILNS1_25lookback_scan_determinismE0ELb0ENS1_19wrapped_scan_configINS0_14default_configEdEEPKdPdSt10multipliesIdEddNS1_19lookback_scan_stateIdLb1ELb1EEEEEvT2_T3_mT5_T4_T7_jPT6_SK_bb.uses_vcc, 0
	.set _ZN7rocprim17ROCPRIM_304000_NS6detail20lookback_scan_kernelILNS1_25lookback_scan_determinismE0ELb0ENS1_19wrapped_scan_configINS0_14default_configEdEEPKdPdSt10multipliesIdEddNS1_19lookback_scan_stateIdLb1ELb1EEEEEvT2_T3_mT5_T4_T7_jPT6_SK_bb.uses_flat_scratch, 0
	.set _ZN7rocprim17ROCPRIM_304000_NS6detail20lookback_scan_kernelILNS1_25lookback_scan_determinismE0ELb0ENS1_19wrapped_scan_configINS0_14default_configEdEEPKdPdSt10multipliesIdEddNS1_19lookback_scan_stateIdLb1ELb1EEEEEvT2_T3_mT5_T4_T7_jPT6_SK_bb.has_dyn_sized_stack, 0
	.set _ZN7rocprim17ROCPRIM_304000_NS6detail20lookback_scan_kernelILNS1_25lookback_scan_determinismE0ELb0ENS1_19wrapped_scan_configINS0_14default_configEdEEPKdPdSt10multipliesIdEddNS1_19lookback_scan_stateIdLb1ELb1EEEEEvT2_T3_mT5_T4_T7_jPT6_SK_bb.has_recursion, 0
	.set _ZN7rocprim17ROCPRIM_304000_NS6detail20lookback_scan_kernelILNS1_25lookback_scan_determinismE0ELb0ENS1_19wrapped_scan_configINS0_14default_configEdEEPKdPdSt10multipliesIdEddNS1_19lookback_scan_stateIdLb1ELb1EEEEEvT2_T3_mT5_T4_T7_jPT6_SK_bb.has_indirect_call, 0
	.section	.AMDGPU.csdata,"",@progbits
; Kernel info:
; codeLenInByte = 4
; TotalNumSgprs: 4
; NumVgprs: 0
; ScratchSize: 0
; MemoryBound: 0
; FloatMode: 240
; IeeeMode: 1
; LDSByteSize: 0 bytes/workgroup (compile time only)
; SGPRBlocks: 0
; VGPRBlocks: 0
; NumSGPRsForWavesPerEU: 4
; NumVGPRsForWavesPerEU: 1
; Occupancy: 10
; WaveLimiterHint : 0
; COMPUTE_PGM_RSRC2:SCRATCH_EN: 0
; COMPUTE_PGM_RSRC2:USER_SGPR: 6
; COMPUTE_PGM_RSRC2:TRAP_HANDLER: 0
; COMPUTE_PGM_RSRC2:TGID_X_EN: 1
; COMPUTE_PGM_RSRC2:TGID_Y_EN: 0
; COMPUTE_PGM_RSRC2:TGID_Z_EN: 0
; COMPUTE_PGM_RSRC2:TIDIG_COMP_CNT: 0
	.section	.text._ZN7rocprim17ROCPRIM_304000_NS6detail20lookback_scan_kernelILNS1_25lookback_scan_determinismE0ELb0ENS1_19wrapped_scan_configINS0_14default_configEdEEPKdPdSt10multipliesIdEddNS1_19lookback_scan_stateIdLb0ELb1EEEEEvT2_T3_mT5_T4_T7_jPT6_SK_bb,"axG",@progbits,_ZN7rocprim17ROCPRIM_304000_NS6detail20lookback_scan_kernelILNS1_25lookback_scan_determinismE0ELb0ENS1_19wrapped_scan_configINS0_14default_configEdEEPKdPdSt10multipliesIdEddNS1_19lookback_scan_stateIdLb0ELb1EEEEEvT2_T3_mT5_T4_T7_jPT6_SK_bb,comdat
	.protected	_ZN7rocprim17ROCPRIM_304000_NS6detail20lookback_scan_kernelILNS1_25lookback_scan_determinismE0ELb0ENS1_19wrapped_scan_configINS0_14default_configEdEEPKdPdSt10multipliesIdEddNS1_19lookback_scan_stateIdLb0ELb1EEEEEvT2_T3_mT5_T4_T7_jPT6_SK_bb ; -- Begin function _ZN7rocprim17ROCPRIM_304000_NS6detail20lookback_scan_kernelILNS1_25lookback_scan_determinismE0ELb0ENS1_19wrapped_scan_configINS0_14default_configEdEEPKdPdSt10multipliesIdEddNS1_19lookback_scan_stateIdLb0ELb1EEEEEvT2_T3_mT5_T4_T7_jPT6_SK_bb
	.globl	_ZN7rocprim17ROCPRIM_304000_NS6detail20lookback_scan_kernelILNS1_25lookback_scan_determinismE0ELb0ENS1_19wrapped_scan_configINS0_14default_configEdEEPKdPdSt10multipliesIdEddNS1_19lookback_scan_stateIdLb0ELb1EEEEEvT2_T3_mT5_T4_T7_jPT6_SK_bb
	.p2align	8
	.type	_ZN7rocprim17ROCPRIM_304000_NS6detail20lookback_scan_kernelILNS1_25lookback_scan_determinismE0ELb0ENS1_19wrapped_scan_configINS0_14default_configEdEEPKdPdSt10multipliesIdEddNS1_19lookback_scan_stateIdLb0ELb1EEEEEvT2_T3_mT5_T4_T7_jPT6_SK_bb,@function
_ZN7rocprim17ROCPRIM_304000_NS6detail20lookback_scan_kernelILNS1_25lookback_scan_determinismE0ELb0ENS1_19wrapped_scan_configINS0_14default_configEdEEPKdPdSt10multipliesIdEddNS1_19lookback_scan_stateIdLb0ELb1EEEEEvT2_T3_mT5_T4_T7_jPT6_SK_bb: ; @_ZN7rocprim17ROCPRIM_304000_NS6detail20lookback_scan_kernelILNS1_25lookback_scan_determinismE0ELb0ENS1_19wrapped_scan_configINS0_14default_configEdEEPKdPdSt10multipliesIdEddNS1_19lookback_scan_stateIdLb0ELb1EEEEEvT2_T3_mT5_T4_T7_jPT6_SK_bb
; %bb.0:
	s_load_dword s3, s[4:5], 0x30
	s_load_dwordx4 s[8:11], s[4:5], 0x0
	s_load_dwordx2 s[0:1], s[4:5], 0x10
	s_mul_i32 s2, s6, 0x500
	v_lshlrev_b32_e32 v47, 3, v0
	s_waitcnt lgkmcnt(0)
	s_add_i32 s7, s3, -1
	s_mul_i32 s12, s7, 0x500
	s_sub_u32 s22, s0, s12
	s_subb_u32 s23, s1, 0
	s_mov_b32 s3, 0
	s_cmp_lg_u32 s6, s7
	s_cselect_b64 s[16:17], -1, 0
	s_lshl_b64 s[18:19], s[2:3], 3
	s_add_u32 s8, s8, s18
	s_addc_u32 s9, s9, s19
	s_mov_b64 s[0:1], -1
	s_and_b64 vcc, exec, s[16:17]
	s_cbranch_vccz .LBB48_2
; %bb.1:
	v_mov_b32_e32 v1, s9
	v_add_co_u32_e32 v19, vcc, s8, v47
	v_addc_co_u32_e32 v20, vcc, 0, v1, vcc
	v_add_co_u32_e32 v9, vcc, 0x1000, v19
	v_addc_co_u32_e32 v10, vcc, 0, v20, vcc
	global_load_dwordx2 v[1:2], v47, s[8:9]
	global_load_dwordx2 v[3:4], v47, s[8:9] offset:1024
	global_load_dwordx2 v[5:6], v47, s[8:9] offset:2048
	;; [unrolled: 1-line block ×3, first 2 shown]
	global_load_dwordx2 v[11:12], v[9:10], off
	global_load_dwordx2 v[13:14], v[9:10], off offset:1024
	global_load_dwordx2 v[15:16], v[9:10], off offset:2048
	;; [unrolled: 1-line block ×3, first 2 shown]
	v_add_co_u32_e32 v9, vcc, 0x2000, v19
	v_addc_co_u32_e32 v10, vcc, 0, v20, vcc
	global_load_dwordx2 v[19:20], v[9:10], off
	global_load_dwordx2 v[21:22], v[9:10], off offset:1024
	s_mov_b64 s[0:1], 0
	s_waitcnt vmcnt(8)
	ds_write2st64_b64 v47, v[1:2], v[3:4] offset1:2
	s_waitcnt vmcnt(6)
	ds_write2st64_b64 v47, v[5:6], v[7:8] offset0:4 offset1:6
	s_waitcnt vmcnt(4)
	ds_write2st64_b64 v47, v[11:12], v[13:14] offset0:8 offset1:10
	;; [unrolled: 2-line block ×4, first 2 shown]
	s_waitcnt lgkmcnt(0)
	s_barrier
.LBB48_2:
	s_andn2_b64 vcc, exec, s[0:1]
	v_cmp_gt_u32_e64 s[0:1], s22, v0
	s_cbranch_vccnz .LBB48_24
; %bb.3:
	s_load_dwordx2 s[2:3], s[8:9], 0x0
	v_mov_b32_e32 v1, s9
	v_add_co_u32_e32 v3, vcc, s8, v47
	v_addc_co_u32_e32 v4, vcc, 0, v1, vcc
	s_waitcnt lgkmcnt(0)
	v_mov_b32_e32 v1, s2
	v_mov_b32_e32 v2, s3
	s_and_saveexec_b64 s[8:9], s[0:1]
	s_cbranch_execz .LBB48_5
; %bb.4:
	global_load_dwordx2 v[1:2], v[3:4], off
.LBB48_5:
	s_or_b64 exec, exec, s[8:9]
	v_or_b32_e32 v5, 0x80, v0
	v_cmp_gt_u32_e32 vcc, s22, v5
	v_mov_b32_e32 v6, s3
	v_mov_b32_e32 v5, s2
	s_and_saveexec_b64 s[0:1], vcc
	s_cbranch_execz .LBB48_7
; %bb.6:
	global_load_dwordx2 v[5:6], v[3:4], off offset:1024
.LBB48_7:
	s_or_b64 exec, exec, s[0:1]
	v_or_b32_e32 v7, 0x100, v0
	v_cmp_gt_u32_e32 vcc, s22, v7
	v_mov_b32_e32 v8, s3
	v_mov_b32_e32 v7, s2
	s_and_saveexec_b64 s[0:1], vcc
	s_cbranch_execz .LBB48_9
; %bb.8:
	global_load_dwordx2 v[7:8], v[3:4], off offset:2048
.LBB48_9:
	s_or_b64 exec, exec, s[0:1]
	v_or_b32_e32 v9, 0x180, v0
	v_cmp_gt_u32_e32 vcc, s22, v9
	v_mov_b32_e32 v10, s3
	v_mov_b32_e32 v9, s2
	s_and_saveexec_b64 s[0:1], vcc
	s_cbranch_execz .LBB48_11
; %bb.10:
	global_load_dwordx2 v[9:10], v[3:4], off offset:3072
.LBB48_11:
	s_or_b64 exec, exec, s[0:1]
	v_or_b32_e32 v11, 0x200, v0
	v_cmp_gt_u32_e32 vcc, s22, v11
	v_mov_b32_e32 v12, s3
	v_mov_b32_e32 v11, s2
	s_and_saveexec_b64 s[0:1], vcc
	s_cbranch_execz .LBB48_13
; %bb.12:
	v_add_co_u32_e32 v11, vcc, 0x1000, v3
	v_addc_co_u32_e32 v12, vcc, 0, v4, vcc
	global_load_dwordx2 v[11:12], v[11:12], off
.LBB48_13:
	s_or_b64 exec, exec, s[0:1]
	v_or_b32_e32 v13, 0x280, v0
	v_cmp_gt_u32_e32 vcc, s22, v13
	v_mov_b32_e32 v14, s3
	v_mov_b32_e32 v13, s2
	s_and_saveexec_b64 s[0:1], vcc
	s_cbranch_execz .LBB48_15
; %bb.14:
	v_add_co_u32_e32 v13, vcc, 0x1000, v3
	v_addc_co_u32_e32 v14, vcc, 0, v4, vcc
	global_load_dwordx2 v[13:14], v[13:14], off offset:1024
.LBB48_15:
	s_or_b64 exec, exec, s[0:1]
	v_or_b32_e32 v15, 0x300, v0
	v_cmp_gt_u32_e32 vcc, s22, v15
	v_mov_b32_e32 v16, s3
	v_mov_b32_e32 v15, s2
	s_and_saveexec_b64 s[0:1], vcc
	s_cbranch_execz .LBB48_17
; %bb.16:
	v_add_co_u32_e32 v15, vcc, 0x1000, v3
	v_addc_co_u32_e32 v16, vcc, 0, v4, vcc
	global_load_dwordx2 v[15:16], v[15:16], off offset:2048
.LBB48_17:
	;; [unrolled: 12-line block ×3, first 2 shown]
	s_or_b64 exec, exec, s[0:1]
	v_or_b32_e32 v19, 0x400, v0
	v_cmp_gt_u32_e32 vcc, s22, v19
	v_mov_b32_e32 v20, s3
	v_mov_b32_e32 v19, s2
	s_and_saveexec_b64 s[0:1], vcc
	s_cbranch_execz .LBB48_21
; %bb.20:
	v_add_co_u32_e32 v19, vcc, 0x2000, v3
	v_addc_co_u32_e32 v20, vcc, 0, v4, vcc
	global_load_dwordx2 v[19:20], v[19:20], off
.LBB48_21:
	s_or_b64 exec, exec, s[0:1]
	v_or_b32_e32 v21, 0x480, v0
	v_cmp_gt_u32_e32 vcc, s22, v21
	v_mov_b32_e32 v22, s3
	v_mov_b32_e32 v21, s2
	s_and_saveexec_b64 s[0:1], vcc
	s_cbranch_execz .LBB48_23
; %bb.22:
	v_add_co_u32_e32 v3, vcc, 0x2000, v3
	v_addc_co_u32_e32 v4, vcc, 0, v4, vcc
	global_load_dwordx2 v[21:22], v[3:4], off offset:1024
.LBB48_23:
	s_or_b64 exec, exec, s[0:1]
	s_waitcnt vmcnt(0)
	ds_write2st64_b64 v47, v[1:2], v[5:6] offset1:2
	ds_write2st64_b64 v47, v[7:8], v[9:10] offset0:4 offset1:6
	ds_write2st64_b64 v47, v[11:12], v[13:14] offset0:8 offset1:10
	;; [unrolled: 1-line block ×4, first 2 shown]
	s_waitcnt lgkmcnt(0)
	s_barrier
.LBB48_24:
	v_mul_u32_u24_e32 v48, 0x50, v0
	ds_read_b128 v[1:4], v48
	ds_read_b128 v[13:16], v48 offset:16
	ds_read_b128 v[9:12], v48 offset:32
	ds_read_b128 v[5:8], v48 offset:48
	ds_read_b128 v[17:20], v48 offset:64
	s_load_dwordx2 s[8:9], s[4:5], 0x28
	s_cmp_lg_u32 s6, 0
	v_lshrrev_b32_e32 v41, 2, v0
	v_cmp_gt_u32_e32 vcc, 64, v0
	s_waitcnt lgkmcnt(0)
	s_barrier
	s_cbranch_scc0 .LBB48_74
; %bb.25:
	v_mul_f64 v[21:22], v[1:2], v[3:4]
	v_mul_f64 v[21:22], v[13:14], v[21:22]
	;; [unrolled: 1-line block ×9, first 2 shown]
	v_and_b32_e32 v21, 24, v41
	v_lshl_add_u32 v21, v0, 3, v21
	ds_write_b64 v21, v[29:30]
	s_waitcnt lgkmcnt(0)
	s_barrier
	s_and_saveexec_b64 s[2:3], vcc
	s_cbranch_execz .LBB48_37
; %bb.26:
	v_lshrrev_b32_e32 v21, 1, v0
	v_and_b32_e32 v21, 56, v21
	v_lshlrev_b32_e32 v22, 4, v0
	v_add_u32_e32 v31, v21, v22
	ds_read2_b64 v[21:24], v31 offset1:1
	v_mbcnt_lo_u32_b32 v27, -1, 0
	v_mbcnt_hi_u32_b32 v32, -1, v27
	v_and_b32_e32 v33, 15, v32
	v_cmp_ne_u32_e64 s[0:1], 0, v33
	s_waitcnt lgkmcnt(0)
	v_mul_f64 v[25:26], v[21:22], v[23:24]
	s_nop 1
	v_mov_b32_dpp v27, v25 row_shr:1 row_mask:0xf bank_mask:0xf
	v_mov_b32_dpp v28, v26 row_shr:1 row_mask:0xf bank_mask:0xf
	s_and_saveexec_b64 s[12:13], s[0:1]
; %bb.27:
	v_mul_f64 v[25:26], v[25:26], v[27:28]
; %bb.28:
	s_or_b64 exec, exec, s[12:13]
	s_nop 0
	v_mov_b32_dpp v27, v25 row_shr:2 row_mask:0xf bank_mask:0xf
	v_mov_b32_dpp v28, v26 row_shr:2 row_mask:0xf bank_mask:0xf
	v_cmp_lt_u32_e64 s[0:1], 1, v33
	s_and_saveexec_b64 s[12:13], s[0:1]
; %bb.29:
	v_mul_f64 v[25:26], v[25:26], v[27:28]
; %bb.30:
	s_or_b64 exec, exec, s[12:13]
	s_nop 0
	v_mov_b32_dpp v27, v25 row_shr:4 row_mask:0xf bank_mask:0xf
	v_mov_b32_dpp v28, v26 row_shr:4 row_mask:0xf bank_mask:0xf
	v_cmp_lt_u32_e64 s[0:1], 3, v33
	;; [unrolled: 9-line block ×3, first 2 shown]
	s_and_saveexec_b64 s[12:13], s[0:1]
; %bb.33:
	v_mul_f64 v[25:26], v[25:26], v[27:28]
; %bb.34:
	s_or_b64 exec, exec, s[12:13]
	v_and_b32_e32 v33, 16, v32
	v_mov_b32_dpp v27, v25 row_bcast:15 row_mask:0xf bank_mask:0xf
	v_mov_b32_dpp v28, v26 row_bcast:15 row_mask:0xf bank_mask:0xf
	v_cmp_ne_u32_e64 s[0:1], 0, v33
	s_and_saveexec_b64 s[12:13], s[0:1]
; %bb.35:
	v_mul_f64 v[25:26], v[25:26], v[27:28]
; %bb.36:
	s_or_b64 exec, exec, s[12:13]
	s_nop 0
	v_mov_b32_dpp v27, v25 row_bcast:31 row_mask:0xf bank_mask:0xf
	v_mov_b32_dpp v28, v26 row_bcast:31 row_mask:0xf bank_mask:0xf
	v_mul_f64 v[27:28], v[25:26], v[27:28]
	v_add_u32_e32 v33, -1, v32
	v_and_b32_e32 v34, 64, v32
	v_cmp_lt_i32_e64 s[0:1], v33, v34
	v_cndmask_b32_e64 v33, v33, v32, s[0:1]
	v_cmp_lt_u32_e64 s[0:1], 31, v32
	v_cndmask_b32_e64 v26, v26, v28, s[0:1]
	v_cndmask_b32_e64 v25, v25, v27, s[0:1]
	v_lshlrev_b32_e32 v27, 2, v33
	ds_bpermute_b32 v25, v27, v25
	ds_bpermute_b32 v26, v27, v26
	v_cmp_eq_u32_e64 s[0:1], 0, v0
	s_waitcnt lgkmcnt(0)
	v_mul_f64 v[21:22], v[21:22], v[25:26]
	v_cndmask_b32_e64 v22, v22, v30, s[0:1]
	v_cndmask_b32_e64 v21, v21, v29, s[0:1]
	v_mul_f64 v[23:24], v[23:24], v[21:22]
	ds_write2_b64 v31, v[21:22], v[23:24] offset1:1
.LBB48_37:
	s_or_b64 exec, exec, s[2:3]
	v_cmp_eq_u32_e64 s[0:1], 0, v0
	v_cmp_ne_u32_e64 s[2:3], 0, v0
	s_waitcnt lgkmcnt(0)
	s_barrier
	s_and_saveexec_b64 s[12:13], s[2:3]
; %bb.38:
	v_add_u32_e32 v21, -1, v0
	v_lshrrev_b32_e32 v22, 2, v21
	v_and_b32_e32 v22, 0x3ffffff8, v22
	v_lshl_add_u32 v21, v21, 3, v22
	ds_read_b64 v[29:30], v21
; %bb.39:
	s_or_b64 exec, exec, s[12:13]
	s_and_saveexec_b64 s[12:13], vcc
	s_cbranch_execz .LBB48_79
; %bb.40:
	v_mov_b32_e32 v24, 0
	ds_read_b64 v[21:22], v24 offset:1040
	v_mbcnt_lo_u32_b32 v23, -1, 0
	v_mbcnt_hi_u32_b32 v34, -1, v23
	s_mov_b32 s21, 0
	v_cmp_eq_u32_e64 s[2:3], 0, v34
	s_and_saveexec_b64 s[14:15], s[2:3]
	s_cbranch_execz .LBB48_42
; %bb.41:
	s_add_i32 s20, s6, 64
	s_lshl_b64 s[20:21], s[20:21], 4
	s_add_u32 s20, s8, s20
	s_addc_u32 s21, s9, s21
	v_mov_b32_e32 v26, s21
	v_mov_b32_e32 v23, 1
	;; [unrolled: 1-line block ×3, first 2 shown]
	s_waitcnt lgkmcnt(0)
	;;#ASMSTART
	global_store_dwordx4 v[25:26], v[21:24] off	
s_waitcnt vmcnt(0)
	;;#ASMEND
.LBB48_42:
	s_or_b64 exec, exec, s[14:15]
	v_xad_u32 v31, v34, -1, s6
	v_add_u32_e32 v23, 64, v31
	v_lshlrev_b64 v[25:26], 4, v[23:24]
	v_mov_b32_e32 v23, s9
	v_add_co_u32_e32 v32, vcc, s8, v25
	v_addc_co_u32_e32 v33, vcc, v23, v26, vcc
	;;#ASMSTART
	global_load_dwordx4 v[25:28], v[32:33] off glc	
s_waitcnt vmcnt(0)
	;;#ASMEND
	v_cmp_eq_u16_sdwa s[20:21], v27, v24 src0_sel:BYTE_0 src1_sel:DWORD
	s_and_saveexec_b64 s[14:15], s[20:21]
	s_cbranch_execz .LBB48_46
; %bb.43:
	s_mov_b64 s[20:21], 0
	v_mov_b32_e32 v23, 0
.LBB48_44:                              ; =>This Inner Loop Header: Depth=1
	;;#ASMSTART
	global_load_dwordx4 v[25:28], v[32:33] off glc	
s_waitcnt vmcnt(0)
	;;#ASMEND
	v_cmp_ne_u16_sdwa s[24:25], v27, v23 src0_sel:BYTE_0 src1_sel:DWORD
	s_or_b64 s[20:21], s[24:25], s[20:21]
	s_andn2_b64 exec, exec, s[20:21]
	s_cbranch_execnz .LBB48_44
; %bb.45:
	s_or_b64 exec, exec, s[20:21]
.LBB48_46:
	s_or_b64 exec, exec, s[14:15]
	v_and_b32_e32 v35, 63, v34
	v_mov_b32_e32 v28, 2
	v_lshlrev_b64 v[23:24], v34, -1
	v_cmp_ne_u32_e32 vcc, 63, v35
	v_cmp_eq_u16_sdwa s[14:15], v27, v28 src0_sel:BYTE_0 src1_sel:DWORD
	v_addc_co_u32_e32 v32, vcc, 0, v34, vcc
	v_and_b32_e32 v28, s15, v24
	v_lshlrev_b32_e32 v37, 2, v32
	v_or_b32_e32 v28, 0x80000000, v28
	ds_bpermute_b32 v32, v37, v25
	ds_bpermute_b32 v33, v37, v26
	v_and_b32_e32 v36, s14, v23
	v_ffbl_b32_e32 v28, v28
	v_add_u32_e32 v28, 32, v28
	v_ffbl_b32_e32 v36, v36
	v_min_u32_e32 v28, v36, v28
	v_add_u32_e32 v38, 1, v34
	v_cmp_le_u32_e32 vcc, v38, v28
	s_and_saveexec_b64 s[14:15], vcc
	s_cbranch_execz .LBB48_48
; %bb.47:
	s_waitcnt lgkmcnt(0)
	v_mul_f64 v[25:26], v[25:26], v[32:33]
.LBB48_48:
	s_or_b64 exec, exec, s[14:15]
	v_cmp_gt_u32_e32 vcc, 62, v35
	s_waitcnt lgkmcnt(1)
	v_cndmask_b32_e64 v32, 0, 2, vcc
	v_add_lshl_u32 v39, v32, v34, 2
	ds_bpermute_b32 v32, v39, v25
	s_waitcnt lgkmcnt(1)
	ds_bpermute_b32 v33, v39, v26
	v_add_u32_e32 v40, 2, v34
	v_cmp_le_u32_e32 vcc, v40, v28
	s_and_saveexec_b64 s[14:15], vcc
	s_cbranch_execz .LBB48_50
; %bb.49:
	s_waitcnt lgkmcnt(0)
	v_mul_f64 v[25:26], v[25:26], v[32:33]
.LBB48_50:
	s_or_b64 exec, exec, s[14:15]
	v_cmp_gt_u32_e32 vcc, 60, v35
	s_waitcnt lgkmcnt(1)
	v_cndmask_b32_e64 v32, 0, 4, vcc
	v_add_lshl_u32 v42, v32, v34, 2
	ds_bpermute_b32 v32, v42, v25
	s_waitcnt lgkmcnt(1)
	ds_bpermute_b32 v33, v42, v26
	;; [unrolled: 16-line block ×4, first 2 shown]
	v_add_u32_e32 v49, 16, v34
	v_cmp_le_u32_e32 vcc, v49, v28
	s_and_saveexec_b64 s[14:15], vcc
	s_cbranch_execz .LBB48_56
; %bb.55:
	s_waitcnt lgkmcnt(0)
	v_mul_f64 v[25:26], v[25:26], v[32:33]
.LBB48_56:
	s_or_b64 exec, exec, s[14:15]
	s_waitcnt lgkmcnt(1)
	v_mov_b32_e32 v32, 0x80
	v_lshl_or_b32 v50, v34, 2, v32
	ds_bpermute_b32 v32, v50, v25
	s_waitcnt lgkmcnt(1)
	ds_bpermute_b32 v33, v50, v26
	v_add_u32_e32 v51, 32, v34
	v_cmp_gt_u32_e32 vcc, v51, v28
	v_mov_b32_e32 v52, 2
	s_waitcnt lgkmcnt(0)
	v_mul_f64 v[35:36], v[25:26], v[32:33]
	v_mov_b32_e32 v32, 0
	v_cndmask_b32_e32 v26, v36, v26, vcc
	v_cndmask_b32_e32 v25, v35, v25, vcc
	s_branch .LBB48_59
.LBB48_57:                              ;   in Loop: Header=BB48_59 Depth=1
	s_or_b64 exec, exec, s[14:15]
	s_waitcnt lgkmcnt(1)
	ds_bpermute_b32 v35, v50, v25
	s_waitcnt lgkmcnt(1)
	ds_bpermute_b32 v36, v50, v26
	v_cmp_gt_u32_e32 vcc, v51, v28
	v_subrev_u32_e32 v31, 64, v31
	s_mov_b64 s[14:15], 0
	s_waitcnt lgkmcnt(0)
	v_mul_f64 v[35:36], v[25:26], v[35:36]
	v_cndmask_b32_e32 v26, v36, v26, vcc
	v_cndmask_b32_e32 v25, v35, v25, vcc
	v_mul_f64 v[25:26], v[33:34], v[25:26]
.LBB48_58:                              ;   in Loop: Header=BB48_59 Depth=1
	s_and_b64 vcc, exec, s[14:15]
	s_cbranch_vccnz .LBB48_75
.LBB48_59:                              ; =>This Loop Header: Depth=1
                                        ;     Child Loop BB48_62 Depth 2
	v_mov_b32_e32 v34, v26
	v_cmp_ne_u16_sdwa s[14:15], v27, v52 src0_sel:BYTE_0 src1_sel:DWORD
	v_mov_b32_e32 v33, v25
	s_cmp_lg_u64 s[14:15], exec
	s_mov_b64 s[14:15], -1
                                        ; implicit-def: $vgpr25_vgpr26
                                        ; implicit-def: $vgpr27
	s_cbranch_scc1 .LBB48_58
; %bb.60:                               ;   in Loop: Header=BB48_59 Depth=1
	v_lshlrev_b64 v[25:26], 4, v[31:32]
	v_mov_b32_e32 v27, s9
	v_add_co_u32_e32 v35, vcc, s8, v25
	v_addc_co_u32_e32 v36, vcc, v27, v26, vcc
	;;#ASMSTART
	global_load_dwordx4 v[25:28], v[35:36] off glc	
s_waitcnt vmcnt(0)
	;;#ASMEND
	v_cmp_eq_u16_sdwa s[20:21], v27, v32 src0_sel:BYTE_0 src1_sel:DWORD
	s_and_saveexec_b64 s[14:15], s[20:21]
	s_cbranch_execz .LBB48_64
; %bb.61:                               ;   in Loop: Header=BB48_59 Depth=1
	s_mov_b64 s[20:21], 0
.LBB48_62:                              ;   Parent Loop BB48_59 Depth=1
                                        ; =>  This Inner Loop Header: Depth=2
	;;#ASMSTART
	global_load_dwordx4 v[25:28], v[35:36] off glc	
s_waitcnt vmcnt(0)
	;;#ASMEND
	v_cmp_ne_u16_sdwa s[24:25], v27, v32 src0_sel:BYTE_0 src1_sel:DWORD
	s_or_b64 s[20:21], s[24:25], s[20:21]
	s_andn2_b64 exec, exec, s[20:21]
	s_cbranch_execnz .LBB48_62
; %bb.63:                               ;   in Loop: Header=BB48_59 Depth=1
	s_or_b64 exec, exec, s[20:21]
.LBB48_64:                              ;   in Loop: Header=BB48_59 Depth=1
	s_or_b64 exec, exec, s[14:15]
	v_cmp_eq_u16_sdwa s[14:15], v27, v52 src0_sel:BYTE_0 src1_sel:DWORD
	v_and_b32_e32 v28, s15, v24
	v_or_b32_e32 v28, 0x80000000, v28
	ds_bpermute_b32 v35, v37, v25
	ds_bpermute_b32 v36, v37, v26
	v_and_b32_e32 v53, s14, v23
	v_ffbl_b32_e32 v28, v28
	v_add_u32_e32 v28, 32, v28
	v_ffbl_b32_e32 v53, v53
	v_min_u32_e32 v28, v53, v28
	v_cmp_le_u32_e32 vcc, v38, v28
	s_and_saveexec_b64 s[14:15], vcc
	s_cbranch_execz .LBB48_66
; %bb.65:                               ;   in Loop: Header=BB48_59 Depth=1
	s_waitcnt lgkmcnt(0)
	v_mul_f64 v[25:26], v[25:26], v[35:36]
.LBB48_66:                              ;   in Loop: Header=BB48_59 Depth=1
	s_or_b64 exec, exec, s[14:15]
	s_waitcnt lgkmcnt(1)
	ds_bpermute_b32 v35, v39, v25
	s_waitcnt lgkmcnt(1)
	ds_bpermute_b32 v36, v39, v26
	v_cmp_le_u32_e32 vcc, v40, v28
	s_and_saveexec_b64 s[14:15], vcc
	s_cbranch_execz .LBB48_68
; %bb.67:                               ;   in Loop: Header=BB48_59 Depth=1
	s_waitcnt lgkmcnt(0)
	v_mul_f64 v[25:26], v[25:26], v[35:36]
.LBB48_68:                              ;   in Loop: Header=BB48_59 Depth=1
	s_or_b64 exec, exec, s[14:15]
	s_waitcnt lgkmcnt(1)
	ds_bpermute_b32 v35, v42, v25
	s_waitcnt lgkmcnt(1)
	ds_bpermute_b32 v36, v42, v26
	;; [unrolled: 12-line block ×4, first 2 shown]
	v_cmp_le_u32_e32 vcc, v49, v28
	s_and_saveexec_b64 s[14:15], vcc
	s_cbranch_execz .LBB48_57
; %bb.73:                               ;   in Loop: Header=BB48_59 Depth=1
	s_waitcnt lgkmcnt(0)
	v_mul_f64 v[25:26], v[25:26], v[35:36]
	s_branch .LBB48_57
.LBB48_74:
                                        ; implicit-def: $vgpr21_vgpr22
                                        ; implicit-def: $vgpr25_vgpr26
                                        ; implicit-def: $vgpr29_vgpr30
                                        ; implicit-def: $vgpr33_vgpr34
                                        ; implicit-def: $vgpr37_vgpr38
	s_load_dwordx4 s[12:15], s[4:5], 0x38
	s_cbranch_execnz .LBB48_80
	s_branch .LBB48_99
.LBB48_75:
	s_and_saveexec_b64 s[14:15], s[2:3]
	s_cbranch_execz .LBB48_77
; %bb.76:
	s_add_i32 s2, s6, 64
	s_mov_b32 s3, 0
	s_lshl_b64 s[2:3], s[2:3], 4
	s_add_u32 s2, s8, s2
	s_addc_u32 s3, s9, s3
	v_mov_b32_e32 v26, s3
	v_mul_f64 v[21:22], v[21:22], v[33:34]
	v_mov_b32_e32 v23, 2
	v_mov_b32_e32 v24, 0
	;; [unrolled: 1-line block ×3, first 2 shown]
	;;#ASMSTART
	global_store_dwordx4 v[25:26], v[21:24] off	
s_waitcnt vmcnt(0)
	;;#ASMEND
.LBB48_77:
	s_or_b64 exec, exec, s[14:15]
	s_and_b64 exec, exec, s[0:1]
; %bb.78:
	v_mov_b32_e32 v21, 0
	ds_write_b64 v21, v[33:34]
.LBB48_79:
	s_or_b64 exec, exec, s[12:13]
	s_waitcnt lgkmcnt(0)
	v_mul_f64 v[21:22], v[1:2], v[29:30]
	v_mov_b32_e32 v23, 0
	s_barrier
	ds_read_b64 v[23:24], v23
	v_cndmask_b32_e64 v22, v22, v2, s[0:1]
	v_cndmask_b32_e64 v21, v21, v1, s[0:1]
	s_waitcnt lgkmcnt(0)
	v_mul_f64 v[21:22], v[21:22], v[23:24]
	v_mul_f64 v[23:24], v[3:4], v[21:22]
	;; [unrolled: 1-line block ×10, first 2 shown]
	s_load_dwordx4 s[12:15], s[4:5], 0x38
	s_branch .LBB48_99
.LBB48_80:
	s_load_dword s2, s[4:5], 0x48
	v_cmp_eq_u32_e32 vcc, 0, v0
	v_cmp_ne_u32_e64 s[0:1], 0, v0
	s_waitcnt lgkmcnt(0)
	s_bitcmp1_b32 s2, 0
	s_cselect_b64 s[2:3], -1, 0
	s_and_b64 s[6:7], vcc, s[2:3]
	s_and_saveexec_b64 s[2:3], s[6:7]
	s_cbranch_execz .LBB48_82
; %bb.81:
	v_mov_b32_e32 v21, 0
	global_load_dwordx2 v[21:22], v21, s[12:13]
	s_waitcnt vmcnt(0)
	v_mul_f64 v[1:2], v[1:2], v[21:22]
.LBB48_82:
	s_or_b64 exec, exec, s[2:3]
	v_mul_f64 v[23:24], v[3:4], v[1:2]
	v_and_b32_e32 v21, 24, v41
	v_lshl_add_u32 v21, v0, 3, v21
	v_cmp_gt_u32_e64 s[2:3], 64, v0
	v_mul_f64 v[25:26], v[13:14], v[23:24]
	v_mul_f64 v[27:28], v[15:16], v[25:26]
	;; [unrolled: 1-line block ×8, first 2 shown]
	ds_write_b64 v21, v[39:40]
	s_waitcnt lgkmcnt(0)
	s_barrier
	s_and_saveexec_b64 s[6:7], s[2:3]
	s_cbranch_execz .LBB48_94
; %bb.83:
	v_lshrrev_b32_e32 v21, 1, v0
	v_and_b32_e32 v21, 56, v21
	v_lshlrev_b32_e32 v22, 4, v0
	v_add_u32_e32 v49, v21, v22
	ds_read2_b64 v[41:44], v49 offset1:1
	v_mbcnt_lo_u32_b32 v45, -1, 0
	v_mbcnt_hi_u32_b32 v50, -1, v45
	v_and_b32_e32 v51, 15, v50
	v_cmp_ne_u32_e64 s[2:3], 0, v51
	s_waitcnt lgkmcnt(0)
	v_mul_f64 v[21:22], v[41:42], v[43:44]
	s_nop 1
	v_mov_b32_dpp v45, v21 row_shr:1 row_mask:0xf bank_mask:0xf
	v_mov_b32_dpp v46, v22 row_shr:1 row_mask:0xf bank_mask:0xf
	s_and_saveexec_b64 s[12:13], s[2:3]
; %bb.84:
	v_mul_f64 v[21:22], v[21:22], v[45:46]
; %bb.85:
	s_or_b64 exec, exec, s[12:13]
	s_nop 0
	v_mov_b32_dpp v45, v21 row_shr:2 row_mask:0xf bank_mask:0xf
	v_mov_b32_dpp v46, v22 row_shr:2 row_mask:0xf bank_mask:0xf
	v_cmp_lt_u32_e64 s[2:3], 1, v51
	s_and_saveexec_b64 s[12:13], s[2:3]
; %bb.86:
	v_mul_f64 v[21:22], v[21:22], v[45:46]
; %bb.87:
	s_or_b64 exec, exec, s[12:13]
	s_nop 0
	v_mov_b32_dpp v45, v21 row_shr:4 row_mask:0xf bank_mask:0xf
	v_mov_b32_dpp v46, v22 row_shr:4 row_mask:0xf bank_mask:0xf
	v_cmp_lt_u32_e64 s[2:3], 3, v51
	s_and_saveexec_b64 s[12:13], s[2:3]
; %bb.88:
	v_mul_f64 v[21:22], v[21:22], v[45:46]
; %bb.89:
	s_or_b64 exec, exec, s[12:13]
	s_nop 0
	v_mov_b32_dpp v45, v21 row_shr:8 row_mask:0xf bank_mask:0xf
	v_mov_b32_dpp v46, v22 row_shr:8 row_mask:0xf bank_mask:0xf
	v_cmp_lt_u32_e64 s[2:3], 7, v51
	s_and_saveexec_b64 s[12:13], s[2:3]
; %bb.90:
	v_mul_f64 v[21:22], v[21:22], v[45:46]
; %bb.91:
	s_or_b64 exec, exec, s[12:13]
	v_and_b32_e32 v51, 16, v50
	v_mov_b32_dpp v45, v21 row_bcast:15 row_mask:0xf bank_mask:0xf
	v_mov_b32_dpp v46, v22 row_bcast:15 row_mask:0xf bank_mask:0xf
	v_cmp_ne_u32_e64 s[2:3], 0, v51
	s_and_saveexec_b64 s[12:13], s[2:3]
; %bb.92:
	v_mul_f64 v[21:22], v[21:22], v[45:46]
; %bb.93:
	s_or_b64 exec, exec, s[12:13]
	s_nop 0
	v_mov_b32_dpp v45, v21 row_bcast:31 row_mask:0xf bank_mask:0xf
	v_mov_b32_dpp v46, v22 row_bcast:31 row_mask:0xf bank_mask:0xf
	v_mul_f64 v[45:46], v[21:22], v[45:46]
	v_add_u32_e32 v51, -1, v50
	v_and_b32_e32 v52, 64, v50
	v_cmp_lt_i32_e64 s[2:3], v51, v52
	v_cndmask_b32_e64 v51, v51, v50, s[2:3]
	v_cmp_lt_u32_e64 s[2:3], 31, v50
	v_cndmask_b32_e64 v22, v22, v46, s[2:3]
	v_cndmask_b32_e64 v21, v21, v45, s[2:3]
	v_lshlrev_b32_e32 v45, 2, v51
	ds_bpermute_b32 v21, v45, v21
	ds_bpermute_b32 v22, v45, v22
	s_waitcnt lgkmcnt(0)
	v_mul_f64 v[21:22], v[41:42], v[21:22]
	v_cndmask_b32_e32 v22, v22, v40, vcc
	v_cndmask_b32_e32 v21, v21, v39, vcc
	v_mul_f64 v[41:42], v[43:44], v[21:22]
	ds_write2_b64 v49, v[21:22], v[41:42] offset1:1
.LBB48_94:
	s_or_b64 exec, exec, s[6:7]
	s_waitcnt lgkmcnt(0)
	s_barrier
	s_and_saveexec_b64 s[2:3], s[0:1]
	s_cbranch_execz .LBB48_96
; %bb.95:
	v_add_u32_e32 v21, -1, v0
	v_lshrrev_b32_e32 v22, 2, v21
	v_and_b32_e32 v22, 0x3ffffff8, v22
	v_lshl_add_u32 v21, v21, 3, v22
	ds_read_b64 v[21:22], v21
	s_waitcnt lgkmcnt(0)
	v_mul_f64 v[1:2], v[1:2], v[21:22]
	v_mul_f64 v[23:24], v[3:4], v[1:2]
	;; [unrolled: 1-line block ×10, first 2 shown]
.LBB48_96:
	s_or_b64 exec, exec, s[2:3]
	s_and_saveexec_b64 s[0:1], vcc
	s_cbranch_execz .LBB48_98
; %bb.97:
	s_add_u32 s2, s8, 0x400
	s_addc_u32 s3, s9, 0
	v_mov_b32_e32 v6, 0
	v_mov_b32_e32 v8, s3
	ds_read_b64 v[3:4], v6 offset:1040
	v_mov_b32_e32 v5, 2
	v_mov_b32_e32 v7, s2
	s_waitcnt lgkmcnt(0)
	;;#ASMSTART
	global_store_dwordx4 v[7:8], v[3:6] off	
s_waitcnt vmcnt(0)
	;;#ASMEND
.LBB48_98:
	s_or_b64 exec, exec, s[0:1]
	v_mov_b32_e32 v22, v2
	v_mov_b32_e32 v21, v1
.LBB48_99:
	s_add_u32 s0, s10, s18
	s_addc_u32 s1, s11, s19
	s_mov_b64 s[2:3], -1
	s_and_b64 vcc, exec, s[16:17]
	s_waitcnt lgkmcnt(0)
	s_barrier
	s_cbranch_vccz .LBB48_101
; %bb.100:
	ds_write_b128 v48, v[21:24]
	ds_write_b128 v48, v[25:28] offset:16
	ds_write_b128 v48, v[29:32] offset:32
	;; [unrolled: 1-line block ×4, first 2 shown]
	s_waitcnt lgkmcnt(0)
	s_barrier
	ds_read2st64_b64 v[1:4], v47 offset1:2
	ds_read2st64_b64 v[5:8], v47 offset0:4 offset1:6
	ds_read2st64_b64 v[9:12], v47 offset0:8 offset1:10
	ds_read2st64_b64 v[13:16], v47 offset0:12 offset1:14
	ds_read2st64_b64 v[17:20], v47 offset0:16 offset1:18
	v_mov_b32_e32 v41, s1
	v_add_co_u32_e32 v42, vcc, s0, v47
	v_addc_co_u32_e32 v41, vcc, 0, v41, vcc
	s_movk_i32 s2, 0x1000
	s_waitcnt lgkmcnt(4)
	global_store_dwordx2 v47, v[1:2], s[0:1]
	global_store_dwordx2 v47, v[3:4], s[0:1] offset:1024
	s_waitcnt lgkmcnt(3)
	global_store_dwordx2 v47, v[5:6], s[0:1] offset:2048
	global_store_dwordx2 v47, v[7:8], s[0:1] offset:3072
	v_add_co_u32_e32 v1, vcc, s2, v42
	v_addc_co_u32_e32 v2, vcc, 0, v41, vcc
	s_waitcnt lgkmcnt(2)
	global_store_dwordx2 v[1:2], v[9:10], off
	global_store_dwordx2 v[1:2], v[11:12], off offset:1024
	s_waitcnt lgkmcnt(1)
	global_store_dwordx2 v[1:2], v[13:14], off offset:2048
	global_store_dwordx2 v[1:2], v[15:16], off offset:3072
	v_add_co_u32_e32 v1, vcc, 0x2000, v42
	v_addc_co_u32_e32 v2, vcc, 0, v41, vcc
	s_waitcnt lgkmcnt(0)
	global_store_dwordx2 v[1:2], v[17:18], off
	global_store_dwordx2 v[1:2], v[19:20], off offset:1024
	s_mov_b64 s[2:3], 0
.LBB48_101:
	s_andn2_b64 vcc, exec, s[2:3]
	s_cbranch_vccnz .LBB48_157
; %bb.102:
	s_movk_i32 s2, 0xffb8
	v_mad_i32_i24 v18, v0, s2, v48
	ds_write_b128 v48, v[21:24]
	ds_write_b128 v48, v[25:28] offset:16
	ds_write_b128 v48, v[29:32] offset:32
	ds_write_b128 v48, v[33:36] offset:48
	ds_write_b128 v48, v[37:40] offset:64
	s_waitcnt vmcnt(0) lgkmcnt(0)
	s_barrier
	ds_read2st64_b64 v[2:5], v18 offset1:2
	ds_read2st64_b64 v[10:13], v18 offset0:4 offset1:6
	ds_read2st64_b64 v[6:9], v18 offset0:8 offset1:10
	;; [unrolled: 1-line block ×4, first 2 shown]
	v_mov_b32_e32 v23, s1
	v_add_co_u32_e32 v22, vcc, s0, v47
	v_addc_co_u32_e32 v23, vcc, 0, v23, vcc
	v_mov_b32_e32 v1, 0
	v_cmp_gt_u32_e32 vcc, s22, v0
	s_and_saveexec_b64 s[0:1], vcc
	s_cbranch_execz .LBB48_104
; %bb.103:
	s_waitcnt lgkmcnt(4)
	global_store_dwordx2 v[22:23], v[2:3], off
.LBB48_104:
	s_or_b64 exec, exec, s[0:1]
	v_or_b32_e32 v24, 0x80, v0
	v_cmp_gt_u32_e32 vcc, s22, v24
	s_and_saveexec_b64 s[0:1], vcc
	s_cbranch_execz .LBB48_106
; %bb.105:
	s_waitcnt lgkmcnt(4)
	global_store_dwordx2 v[22:23], v[4:5], off offset:1024
.LBB48_106:
	s_or_b64 exec, exec, s[0:1]
	v_or_b32_e32 v24, 0x100, v0
	v_cmp_gt_u32_e32 vcc, s22, v24
	s_and_saveexec_b64 s[0:1], vcc
	s_cbranch_execz .LBB48_108
; %bb.107:
	s_waitcnt lgkmcnt(3)
	global_store_dwordx2 v[22:23], v[10:11], off offset:2048
.LBB48_108:
	;; [unrolled: 9-line block ×3, first 2 shown]
	s_or_b64 exec, exec, s[0:1]
	v_or_b32_e32 v24, 0x200, v0
	v_cmp_gt_u32_e32 vcc, s22, v24
	s_and_saveexec_b64 s[0:1], vcc
	s_cbranch_execz .LBB48_112
; %bb.111:
	v_add_co_u32_e32 v24, vcc, 0x1000, v22
	v_addc_co_u32_e32 v25, vcc, 0, v23, vcc
	s_waitcnt lgkmcnt(2)
	global_store_dwordx2 v[24:25], v[6:7], off
.LBB48_112:
	s_or_b64 exec, exec, s[0:1]
	v_or_b32_e32 v24, 0x280, v0
	v_cmp_gt_u32_e32 vcc, s22, v24
	s_and_saveexec_b64 s[0:1], vcc
	s_cbranch_execz .LBB48_114
; %bb.113:
	v_add_co_u32_e32 v24, vcc, 0x1000, v22
	v_addc_co_u32_e32 v25, vcc, 0, v23, vcc
	s_waitcnt lgkmcnt(2)
	global_store_dwordx2 v[24:25], v[8:9], off offset:1024
.LBB48_114:
	s_or_b64 exec, exec, s[0:1]
	v_or_b32_e32 v24, 0x300, v0
	v_cmp_gt_u32_e32 vcc, s22, v24
	s_and_saveexec_b64 s[0:1], vcc
	s_cbranch_execz .LBB48_116
; %bb.115:
	v_add_co_u32_e32 v24, vcc, 0x1000, v22
	v_addc_co_u32_e32 v25, vcc, 0, v23, vcc
	s_waitcnt lgkmcnt(1)
	global_store_dwordx2 v[24:25], v[14:15], off offset:2048
.LBB48_116:
	;; [unrolled: 11-line block ×3, first 2 shown]
	s_or_b64 exec, exec, s[0:1]
	v_or_b32_e32 v24, 0x400, v0
	v_cmp_gt_u32_e32 vcc, s22, v24
	s_and_saveexec_b64 s[0:1], vcc
	s_cbranch_execz .LBB48_120
; %bb.119:
	v_add_co_u32_e32 v24, vcc, 0x2000, v22
	v_addc_co_u32_e32 v25, vcc, 0, v23, vcc
	s_waitcnt lgkmcnt(0)
	global_store_dwordx2 v[24:25], v[18:19], off
.LBB48_120:
	s_or_b64 exec, exec, s[0:1]
	v_or_b32_e32 v24, 0x480, v0
	v_cmp_gt_u32_e32 vcc, s22, v24
	s_and_saveexec_b64 s[0:1], vcc
	s_cbranch_execz .LBB48_122
; %bb.121:
	v_add_co_u32_e32 v22, vcc, 0x2000, v22
	v_addc_co_u32_e32 v23, vcc, 0, v23, vcc
	s_waitcnt lgkmcnt(0)
	global_store_dwordx2 v[22:23], v[20:21], off offset:1024
.LBB48_122:
	s_or_b64 exec, exec, s[0:1]
	s_load_dword s0, s[4:5], 0x48
	s_waitcnt lgkmcnt(0)
	s_bfe_u32 s0, s0, 0x10008
	s_cmp_eq_u32 s0, 0
	s_cbranch_scc1 .LBB48_157
; %bb.123:
	s_add_u32 s0, s22, -1
	s_addc_u32 s1, s23, -1
	s_mul_i32 s5, s1, 0xcccccccd
	s_mul_hi_u32 s6, s0, 0xcccccccd
	s_mul_hi_u32 s4, s1, 0xcccccccd
	s_add_u32 s5, s5, s6
	s_mul_i32 s3, s0, 0xcccccccc
	s_addc_u32 s4, s4, 0
	s_mul_hi_u32 s2, s0, 0xcccccccc
	s_add_u32 s3, s3, s5
	s_addc_u32 s2, s2, 0
	s_add_u32 s2, s4, s2
	s_addc_u32 s3, 0, 0
	s_mul_i32 s5, s1, 0xcccccccc
	s_mul_hi_u32 s4, s1, 0xcccccccc
	s_add_u32 s2, s5, s2
	s_addc_u32 s3, s4, s3
	s_lshr_b64 s[2:3], s[2:3], 3
	v_cmp_eq_u64_e32 vcc, s[2:3], v[0:1]
	s_and_saveexec_b64 s[2:3], vcc
	s_cbranch_execz .LBB48_157
; %bb.124:
	v_mul_hi_u32_u24_e32 v1, 10, v0
	v_mul_u32_u24_e32 v0, 10, v0
	v_mov_b32_e32 v22, s1
	v_sub_co_u32_e32 v0, vcc, s0, v0
	v_subb_co_u32_e32 v1, vcc, v22, v1, vcc
	v_cmp_lt_i64_e32 vcc, 4, v[0:1]
	s_and_saveexec_b64 s[0:1], vcc
	s_xor_b64 s[0:1], exec, s[0:1]
	s_cbranch_execz .LBB48_142
; %bb.125:
	v_cmp_lt_i64_e32 vcc, 6, v[0:1]
	s_and_saveexec_b64 s[2:3], vcc
	s_xor_b64 s[2:3], exec, s[2:3]
	s_cbranch_execz .LBB48_135
; %bb.126:
	;; [unrolled: 5-line block ×4, first 2 shown]
	v_mov_b32_e32 v0, 0
	global_store_dwordx2 v0, v[20:21], s[14:15]
                                        ; implicit-def: $vgpr18_vgpr19_vgpr20_vgpr21
.LBB48_129:
	s_andn2_saveexec_b64 s[6:7], s[6:7]
	s_cbranch_execz .LBB48_131
; %bb.130:
	v_mov_b32_e32 v0, 0
	global_store_dwordx2 v0, v[18:19], s[14:15]
.LBB48_131:
	s_or_b64 exec, exec, s[6:7]
                                        ; implicit-def: $vgpr14_vgpr15_vgpr16_vgpr17
.LBB48_132:
	s_andn2_saveexec_b64 s[4:5], s[4:5]
	s_cbranch_execz .LBB48_134
; %bb.133:
	v_mov_b32_e32 v0, 0
	global_store_dwordx2 v0, v[16:17], s[14:15]
.LBB48_134:
	s_or_b64 exec, exec, s[4:5]
                                        ; implicit-def: $vgpr6_vgpr7_vgpr8_vgpr9
                                        ; implicit-def: $vgpr0_vgpr1
                                        ; implicit-def: $vgpr14_vgpr15_vgpr16_vgpr17
.LBB48_135:
	s_andn2_saveexec_b64 s[2:3], s[2:3]
	s_cbranch_execz .LBB48_141
; %bb.136:
	v_cmp_lt_i64_e32 vcc, 5, v[0:1]
	s_and_saveexec_b64 s[4:5], vcc
	s_xor_b64 s[4:5], exec, s[4:5]
	s_cbranch_execz .LBB48_138
; %bb.137:
	v_mov_b32_e32 v0, 0
	global_store_dwordx2 v0, v[14:15], s[14:15]
                                        ; implicit-def: $vgpr6_vgpr7_vgpr8_vgpr9
.LBB48_138:
	s_andn2_saveexec_b64 s[4:5], s[4:5]
	s_cbranch_execz .LBB48_140
; %bb.139:
	v_mov_b32_e32 v0, 0
	global_store_dwordx2 v0, v[8:9], s[14:15]
.LBB48_140:
	s_or_b64 exec, exec, s[4:5]
.LBB48_141:
	s_or_b64 exec, exec, s[2:3]
                                        ; implicit-def: $vgpr0_vgpr1
                                        ; implicit-def: $vgpr10_vgpr11_vgpr12_vgpr13
                                        ; implicit-def: $vgpr2_vgpr3_vgpr4_vgpr5
                                        ; implicit-def: $vgpr6_vgpr7_vgpr8_vgpr9
.LBB48_142:
	s_andn2_saveexec_b64 s[0:1], s[0:1]
	s_cbranch_execz .LBB48_157
; %bb.143:
	v_cmp_lt_i64_e32 vcc, 2, v[0:1]
	s_and_saveexec_b64 s[0:1], vcc
	s_xor_b64 s[0:1], exec, s[0:1]
	s_cbranch_execz .LBB48_149
; %bb.144:
	v_cmp_lt_i64_e32 vcc, 3, v[0:1]
	s_and_saveexec_b64 s[2:3], vcc
	s_xor_b64 s[2:3], exec, s[2:3]
	s_cbranch_execz .LBB48_146
; %bb.145:
	v_mov_b32_e32 v0, 0
	global_store_dwordx2 v0, v[6:7], s[14:15]
                                        ; implicit-def: $vgpr10_vgpr11_vgpr12_vgpr13
.LBB48_146:
	s_andn2_saveexec_b64 s[2:3], s[2:3]
	s_cbranch_execz .LBB48_148
; %bb.147:
	v_mov_b32_e32 v0, 0
	global_store_dwordx2 v0, v[12:13], s[14:15]
.LBB48_148:
	s_or_b64 exec, exec, s[2:3]
                                        ; implicit-def: $vgpr0_vgpr1
                                        ; implicit-def: $vgpr10_vgpr11_vgpr12_vgpr13
                                        ; implicit-def: $vgpr2_vgpr3_vgpr4_vgpr5
.LBB48_149:
	s_andn2_saveexec_b64 s[0:1], s[0:1]
	s_cbranch_execz .LBB48_157
; %bb.150:
	v_cmp_lt_i64_e32 vcc, 1, v[0:1]
	s_and_saveexec_b64 s[0:1], vcc
	s_xor_b64 s[0:1], exec, s[0:1]
	s_cbranch_execz .LBB48_152
; %bb.151:
	v_mov_b32_e32 v0, 0
	global_store_dwordx2 v0, v[10:11], s[14:15]
                                        ; implicit-def: $vgpr2_vgpr3_vgpr4_vgpr5
                                        ; implicit-def: $vgpr0_vgpr1
.LBB48_152:
	s_andn2_saveexec_b64 s[0:1], s[0:1]
	s_cbranch_execz .LBB48_157
; %bb.153:
	v_cmp_ne_u64_e32 vcc, 1, v[0:1]
	s_and_saveexec_b64 s[0:1], vcc
	s_xor_b64 s[0:1], exec, s[0:1]
	s_cbranch_execz .LBB48_155
; %bb.154:
	v_mov_b32_e32 v0, 0
	global_store_dwordx2 v0, v[2:3], s[14:15]
                                        ; implicit-def: $vgpr2_vgpr3_vgpr4_vgpr5
.LBB48_155:
	s_andn2_saveexec_b64 s[0:1], s[0:1]
	s_cbranch_execz .LBB48_157
; %bb.156:
	v_mov_b32_e32 v0, 0
	global_store_dwordx2 v0, v[4:5], s[14:15]
.LBB48_157:
	s_endpgm
	.section	.rodata,"a",@progbits
	.p2align	6, 0x0
	.amdhsa_kernel _ZN7rocprim17ROCPRIM_304000_NS6detail20lookback_scan_kernelILNS1_25lookback_scan_determinismE0ELb0ENS1_19wrapped_scan_configINS0_14default_configEdEEPKdPdSt10multipliesIdEddNS1_19lookback_scan_stateIdLb0ELb1EEEEEvT2_T3_mT5_T4_T7_jPT6_SK_bb
		.amdhsa_group_segment_fixed_size 10240
		.amdhsa_private_segment_fixed_size 0
		.amdhsa_kernarg_size 76
		.amdhsa_user_sgpr_count 6
		.amdhsa_user_sgpr_private_segment_buffer 1
		.amdhsa_user_sgpr_dispatch_ptr 0
		.amdhsa_user_sgpr_queue_ptr 0
		.amdhsa_user_sgpr_kernarg_segment_ptr 1
		.amdhsa_user_sgpr_dispatch_id 0
		.amdhsa_user_sgpr_flat_scratch_init 0
		.amdhsa_user_sgpr_private_segment_size 0
		.amdhsa_uses_dynamic_stack 0
		.amdhsa_system_sgpr_private_segment_wavefront_offset 0
		.amdhsa_system_sgpr_workgroup_id_x 1
		.amdhsa_system_sgpr_workgroup_id_y 0
		.amdhsa_system_sgpr_workgroup_id_z 0
		.amdhsa_system_sgpr_workgroup_info 0
		.amdhsa_system_vgpr_workitem_id 0
		.amdhsa_next_free_vgpr 65
		.amdhsa_next_free_sgpr 98
		.amdhsa_reserve_vcc 1
		.amdhsa_reserve_flat_scratch 0
		.amdhsa_float_round_mode_32 0
		.amdhsa_float_round_mode_16_64 0
		.amdhsa_float_denorm_mode_32 3
		.amdhsa_float_denorm_mode_16_64 3
		.amdhsa_dx10_clamp 1
		.amdhsa_ieee_mode 1
		.amdhsa_fp16_overflow 0
		.amdhsa_exception_fp_ieee_invalid_op 0
		.amdhsa_exception_fp_denorm_src 0
		.amdhsa_exception_fp_ieee_div_zero 0
		.amdhsa_exception_fp_ieee_overflow 0
		.amdhsa_exception_fp_ieee_underflow 0
		.amdhsa_exception_fp_ieee_inexact 0
		.amdhsa_exception_int_div_zero 0
	.end_amdhsa_kernel
	.section	.text._ZN7rocprim17ROCPRIM_304000_NS6detail20lookback_scan_kernelILNS1_25lookback_scan_determinismE0ELb0ENS1_19wrapped_scan_configINS0_14default_configEdEEPKdPdSt10multipliesIdEddNS1_19lookback_scan_stateIdLb0ELb1EEEEEvT2_T3_mT5_T4_T7_jPT6_SK_bb,"axG",@progbits,_ZN7rocprim17ROCPRIM_304000_NS6detail20lookback_scan_kernelILNS1_25lookback_scan_determinismE0ELb0ENS1_19wrapped_scan_configINS0_14default_configEdEEPKdPdSt10multipliesIdEddNS1_19lookback_scan_stateIdLb0ELb1EEEEEvT2_T3_mT5_T4_T7_jPT6_SK_bb,comdat
.Lfunc_end48:
	.size	_ZN7rocprim17ROCPRIM_304000_NS6detail20lookback_scan_kernelILNS1_25lookback_scan_determinismE0ELb0ENS1_19wrapped_scan_configINS0_14default_configEdEEPKdPdSt10multipliesIdEddNS1_19lookback_scan_stateIdLb0ELb1EEEEEvT2_T3_mT5_T4_T7_jPT6_SK_bb, .Lfunc_end48-_ZN7rocprim17ROCPRIM_304000_NS6detail20lookback_scan_kernelILNS1_25lookback_scan_determinismE0ELb0ENS1_19wrapped_scan_configINS0_14default_configEdEEPKdPdSt10multipliesIdEddNS1_19lookback_scan_stateIdLb0ELb1EEEEEvT2_T3_mT5_T4_T7_jPT6_SK_bb
                                        ; -- End function
	.set _ZN7rocprim17ROCPRIM_304000_NS6detail20lookback_scan_kernelILNS1_25lookback_scan_determinismE0ELb0ENS1_19wrapped_scan_configINS0_14default_configEdEEPKdPdSt10multipliesIdEddNS1_19lookback_scan_stateIdLb0ELb1EEEEEvT2_T3_mT5_T4_T7_jPT6_SK_bb.num_vgpr, 54
	.set _ZN7rocprim17ROCPRIM_304000_NS6detail20lookback_scan_kernelILNS1_25lookback_scan_determinismE0ELb0ENS1_19wrapped_scan_configINS0_14default_configEdEEPKdPdSt10multipliesIdEddNS1_19lookback_scan_stateIdLb0ELb1EEEEEvT2_T3_mT5_T4_T7_jPT6_SK_bb.num_agpr, 0
	.set _ZN7rocprim17ROCPRIM_304000_NS6detail20lookback_scan_kernelILNS1_25lookback_scan_determinismE0ELb0ENS1_19wrapped_scan_configINS0_14default_configEdEEPKdPdSt10multipliesIdEddNS1_19lookback_scan_stateIdLb0ELb1EEEEEvT2_T3_mT5_T4_T7_jPT6_SK_bb.numbered_sgpr, 26
	.set _ZN7rocprim17ROCPRIM_304000_NS6detail20lookback_scan_kernelILNS1_25lookback_scan_determinismE0ELb0ENS1_19wrapped_scan_configINS0_14default_configEdEEPKdPdSt10multipliesIdEddNS1_19lookback_scan_stateIdLb0ELb1EEEEEvT2_T3_mT5_T4_T7_jPT6_SK_bb.num_named_barrier, 0
	.set _ZN7rocprim17ROCPRIM_304000_NS6detail20lookback_scan_kernelILNS1_25lookback_scan_determinismE0ELb0ENS1_19wrapped_scan_configINS0_14default_configEdEEPKdPdSt10multipliesIdEddNS1_19lookback_scan_stateIdLb0ELb1EEEEEvT2_T3_mT5_T4_T7_jPT6_SK_bb.private_seg_size, 0
	.set _ZN7rocprim17ROCPRIM_304000_NS6detail20lookback_scan_kernelILNS1_25lookback_scan_determinismE0ELb0ENS1_19wrapped_scan_configINS0_14default_configEdEEPKdPdSt10multipliesIdEddNS1_19lookback_scan_stateIdLb0ELb1EEEEEvT2_T3_mT5_T4_T7_jPT6_SK_bb.uses_vcc, 1
	.set _ZN7rocprim17ROCPRIM_304000_NS6detail20lookback_scan_kernelILNS1_25lookback_scan_determinismE0ELb0ENS1_19wrapped_scan_configINS0_14default_configEdEEPKdPdSt10multipliesIdEddNS1_19lookback_scan_stateIdLb0ELb1EEEEEvT2_T3_mT5_T4_T7_jPT6_SK_bb.uses_flat_scratch, 0
	.set _ZN7rocprim17ROCPRIM_304000_NS6detail20lookback_scan_kernelILNS1_25lookback_scan_determinismE0ELb0ENS1_19wrapped_scan_configINS0_14default_configEdEEPKdPdSt10multipliesIdEddNS1_19lookback_scan_stateIdLb0ELb1EEEEEvT2_T3_mT5_T4_T7_jPT6_SK_bb.has_dyn_sized_stack, 0
	.set _ZN7rocprim17ROCPRIM_304000_NS6detail20lookback_scan_kernelILNS1_25lookback_scan_determinismE0ELb0ENS1_19wrapped_scan_configINS0_14default_configEdEEPKdPdSt10multipliesIdEddNS1_19lookback_scan_stateIdLb0ELb1EEEEEvT2_T3_mT5_T4_T7_jPT6_SK_bb.has_recursion, 0
	.set _ZN7rocprim17ROCPRIM_304000_NS6detail20lookback_scan_kernelILNS1_25lookback_scan_determinismE0ELb0ENS1_19wrapped_scan_configINS0_14default_configEdEEPKdPdSt10multipliesIdEddNS1_19lookback_scan_stateIdLb0ELb1EEEEEvT2_T3_mT5_T4_T7_jPT6_SK_bb.has_indirect_call, 0
	.section	.AMDGPU.csdata,"",@progbits
; Kernel info:
; codeLenInByte = 5120
; TotalNumSgprs: 30
; NumVgprs: 54
; ScratchSize: 0
; MemoryBound: 0
; FloatMode: 240
; IeeeMode: 1
; LDSByteSize: 10240 bytes/workgroup (compile time only)
; SGPRBlocks: 12
; VGPRBlocks: 16
; NumSGPRsForWavesPerEU: 102
; NumVGPRsForWavesPerEU: 65
; Occupancy: 3
; WaveLimiterHint : 1
; COMPUTE_PGM_RSRC2:SCRATCH_EN: 0
; COMPUTE_PGM_RSRC2:USER_SGPR: 6
; COMPUTE_PGM_RSRC2:TRAP_HANDLER: 0
; COMPUTE_PGM_RSRC2:TGID_X_EN: 1
; COMPUTE_PGM_RSRC2:TGID_Y_EN: 0
; COMPUTE_PGM_RSRC2:TGID_Z_EN: 0
; COMPUTE_PGM_RSRC2:TIDIG_COMP_CNT: 0
	.section	.text._ZN7rocprim17ROCPRIM_304000_NS6detail16transform_kernelINS1_24wrapped_transform_configINS0_14default_configEdEEdPdS6_NS0_8identityIdEEEEvT1_mT2_T3_,"axG",@progbits,_ZN7rocprim17ROCPRIM_304000_NS6detail16transform_kernelINS1_24wrapped_transform_configINS0_14default_configEdEEdPdS6_NS0_8identityIdEEEEvT1_mT2_T3_,comdat
	.protected	_ZN7rocprim17ROCPRIM_304000_NS6detail16transform_kernelINS1_24wrapped_transform_configINS0_14default_configEdEEdPdS6_NS0_8identityIdEEEEvT1_mT2_T3_ ; -- Begin function _ZN7rocprim17ROCPRIM_304000_NS6detail16transform_kernelINS1_24wrapped_transform_configINS0_14default_configEdEEdPdS6_NS0_8identityIdEEEEvT1_mT2_T3_
	.globl	_ZN7rocprim17ROCPRIM_304000_NS6detail16transform_kernelINS1_24wrapped_transform_configINS0_14default_configEdEEdPdS6_NS0_8identityIdEEEEvT1_mT2_T3_
	.p2align	8
	.type	_ZN7rocprim17ROCPRIM_304000_NS6detail16transform_kernelINS1_24wrapped_transform_configINS0_14default_configEdEEdPdS6_NS0_8identityIdEEEEvT1_mT2_T3_,@function
_ZN7rocprim17ROCPRIM_304000_NS6detail16transform_kernelINS1_24wrapped_transform_configINS0_14default_configEdEEdPdS6_NS0_8identityIdEEEEvT1_mT2_T3_: ; @_ZN7rocprim17ROCPRIM_304000_NS6detail16transform_kernelINS1_24wrapped_transform_configINS0_14default_configEdEEdPdS6_NS0_8identityIdEEEEvT1_mT2_T3_
; %bb.0:
	s_load_dword s7, s[4:5], 0x20
	s_load_dwordx4 s[0:3], s[4:5], 0x0
	s_lshl_b32 s8, s6, 10
	s_waitcnt lgkmcnt(0)
	s_add_i32 s7, s7, -1
	s_cmp_lg_u32 s6, s7
	s_cselect_b64 s[6:7], -1, 0
	s_sub_i32 s2, s2, s8
	v_cmp_gt_u32_e32 vcc, s2, v0
	s_or_b64 s[2:3], vcc, s[6:7]
	s_and_saveexec_b64 s[6:7], s[2:3]
	s_cbranch_execz .LBB49_2
; %bb.1:
	s_load_dwordx2 s[2:3], s[4:5], 0x10
	s_mov_b32 s9, 0
	s_lshl_b64 s[4:5], s[8:9], 3
	v_lshlrev_b32_e32 v2, 3, v0
	s_waitcnt lgkmcnt(0)
	s_add_u32 s2, s2, s4
	s_addc_u32 s3, s3, s5
	s_add_u32 s0, s0, s4
	s_addc_u32 s1, s1, s5
	global_load_dwordx2 v[0:1], v2, s[0:1]
	s_waitcnt vmcnt(0)
	global_store_dwordx2 v2, v[0:1], s[2:3]
.LBB49_2:
	s_endpgm
	.section	.rodata,"a",@progbits
	.p2align	6, 0x0
	.amdhsa_kernel _ZN7rocprim17ROCPRIM_304000_NS6detail16transform_kernelINS1_24wrapped_transform_configINS0_14default_configEdEEdPdS6_NS0_8identityIdEEEEvT1_mT2_T3_
		.amdhsa_group_segment_fixed_size 0
		.amdhsa_private_segment_fixed_size 0
		.amdhsa_kernarg_size 288
		.amdhsa_user_sgpr_count 6
		.amdhsa_user_sgpr_private_segment_buffer 1
		.amdhsa_user_sgpr_dispatch_ptr 0
		.amdhsa_user_sgpr_queue_ptr 0
		.amdhsa_user_sgpr_kernarg_segment_ptr 1
		.amdhsa_user_sgpr_dispatch_id 0
		.amdhsa_user_sgpr_flat_scratch_init 0
		.amdhsa_user_sgpr_private_segment_size 0
		.amdhsa_uses_dynamic_stack 0
		.amdhsa_system_sgpr_private_segment_wavefront_offset 0
		.amdhsa_system_sgpr_workgroup_id_x 1
		.amdhsa_system_sgpr_workgroup_id_y 0
		.amdhsa_system_sgpr_workgroup_id_z 0
		.amdhsa_system_sgpr_workgroup_info 0
		.amdhsa_system_vgpr_workitem_id 0
		.amdhsa_next_free_vgpr 3
		.amdhsa_next_free_sgpr 10
		.amdhsa_reserve_vcc 1
		.amdhsa_reserve_flat_scratch 0
		.amdhsa_float_round_mode_32 0
		.amdhsa_float_round_mode_16_64 0
		.amdhsa_float_denorm_mode_32 3
		.amdhsa_float_denorm_mode_16_64 3
		.amdhsa_dx10_clamp 1
		.amdhsa_ieee_mode 1
		.amdhsa_fp16_overflow 0
		.amdhsa_exception_fp_ieee_invalid_op 0
		.amdhsa_exception_fp_denorm_src 0
		.amdhsa_exception_fp_ieee_div_zero 0
		.amdhsa_exception_fp_ieee_overflow 0
		.amdhsa_exception_fp_ieee_underflow 0
		.amdhsa_exception_fp_ieee_inexact 0
		.amdhsa_exception_int_div_zero 0
	.end_amdhsa_kernel
	.section	.text._ZN7rocprim17ROCPRIM_304000_NS6detail16transform_kernelINS1_24wrapped_transform_configINS0_14default_configEdEEdPdS6_NS0_8identityIdEEEEvT1_mT2_T3_,"axG",@progbits,_ZN7rocprim17ROCPRIM_304000_NS6detail16transform_kernelINS1_24wrapped_transform_configINS0_14default_configEdEEdPdS6_NS0_8identityIdEEEEvT1_mT2_T3_,comdat
.Lfunc_end49:
	.size	_ZN7rocprim17ROCPRIM_304000_NS6detail16transform_kernelINS1_24wrapped_transform_configINS0_14default_configEdEEdPdS6_NS0_8identityIdEEEEvT1_mT2_T3_, .Lfunc_end49-_ZN7rocprim17ROCPRIM_304000_NS6detail16transform_kernelINS1_24wrapped_transform_configINS0_14default_configEdEEdPdS6_NS0_8identityIdEEEEvT1_mT2_T3_
                                        ; -- End function
	.set _ZN7rocprim17ROCPRIM_304000_NS6detail16transform_kernelINS1_24wrapped_transform_configINS0_14default_configEdEEdPdS6_NS0_8identityIdEEEEvT1_mT2_T3_.num_vgpr, 3
	.set _ZN7rocprim17ROCPRIM_304000_NS6detail16transform_kernelINS1_24wrapped_transform_configINS0_14default_configEdEEdPdS6_NS0_8identityIdEEEEvT1_mT2_T3_.num_agpr, 0
	.set _ZN7rocprim17ROCPRIM_304000_NS6detail16transform_kernelINS1_24wrapped_transform_configINS0_14default_configEdEEdPdS6_NS0_8identityIdEEEEvT1_mT2_T3_.numbered_sgpr, 10
	.set _ZN7rocprim17ROCPRIM_304000_NS6detail16transform_kernelINS1_24wrapped_transform_configINS0_14default_configEdEEdPdS6_NS0_8identityIdEEEEvT1_mT2_T3_.num_named_barrier, 0
	.set _ZN7rocprim17ROCPRIM_304000_NS6detail16transform_kernelINS1_24wrapped_transform_configINS0_14default_configEdEEdPdS6_NS0_8identityIdEEEEvT1_mT2_T3_.private_seg_size, 0
	.set _ZN7rocprim17ROCPRIM_304000_NS6detail16transform_kernelINS1_24wrapped_transform_configINS0_14default_configEdEEdPdS6_NS0_8identityIdEEEEvT1_mT2_T3_.uses_vcc, 1
	.set _ZN7rocprim17ROCPRIM_304000_NS6detail16transform_kernelINS1_24wrapped_transform_configINS0_14default_configEdEEdPdS6_NS0_8identityIdEEEEvT1_mT2_T3_.uses_flat_scratch, 0
	.set _ZN7rocprim17ROCPRIM_304000_NS6detail16transform_kernelINS1_24wrapped_transform_configINS0_14default_configEdEEdPdS6_NS0_8identityIdEEEEvT1_mT2_T3_.has_dyn_sized_stack, 0
	.set _ZN7rocprim17ROCPRIM_304000_NS6detail16transform_kernelINS1_24wrapped_transform_configINS0_14default_configEdEEdPdS6_NS0_8identityIdEEEEvT1_mT2_T3_.has_recursion, 0
	.set _ZN7rocprim17ROCPRIM_304000_NS6detail16transform_kernelINS1_24wrapped_transform_configINS0_14default_configEdEEdPdS6_NS0_8identityIdEEEEvT1_mT2_T3_.has_indirect_call, 0
	.section	.AMDGPU.csdata,"",@progbits
; Kernel info:
; codeLenInByte = 120
; TotalNumSgprs: 14
; NumVgprs: 3
; ScratchSize: 0
; MemoryBound: 0
; FloatMode: 240
; IeeeMode: 1
; LDSByteSize: 0 bytes/workgroup (compile time only)
; SGPRBlocks: 1
; VGPRBlocks: 0
; NumSGPRsForWavesPerEU: 14
; NumVGPRsForWavesPerEU: 3
; Occupancy: 10
; WaveLimiterHint : 0
; COMPUTE_PGM_RSRC2:SCRATCH_EN: 0
; COMPUTE_PGM_RSRC2:USER_SGPR: 6
; COMPUTE_PGM_RSRC2:TRAP_HANDLER: 0
; COMPUTE_PGM_RSRC2:TGID_X_EN: 1
; COMPUTE_PGM_RSRC2:TGID_Y_EN: 0
; COMPUTE_PGM_RSRC2:TGID_Z_EN: 0
; COMPUTE_PGM_RSRC2:TIDIG_COMP_CNT: 0
	.section	.text._ZN7rocprim17ROCPRIM_304000_NS6detail18single_scan_kernelILb0ENS1_19wrapped_scan_configINS0_14default_configEdEEPKdPdSt10multipliesIdEddEEvT1_mT4_T2_T3_,"axG",@progbits,_ZN7rocprim17ROCPRIM_304000_NS6detail18single_scan_kernelILb0ENS1_19wrapped_scan_configINS0_14default_configEdEEPKdPdSt10multipliesIdEddEEvT1_mT4_T2_T3_,comdat
	.protected	_ZN7rocprim17ROCPRIM_304000_NS6detail18single_scan_kernelILb0ENS1_19wrapped_scan_configINS0_14default_configEdEEPKdPdSt10multipliesIdEddEEvT1_mT4_T2_T3_ ; -- Begin function _ZN7rocprim17ROCPRIM_304000_NS6detail18single_scan_kernelILb0ENS1_19wrapped_scan_configINS0_14default_configEdEEPKdPdSt10multipliesIdEddEEvT1_mT4_T2_T3_
	.globl	_ZN7rocprim17ROCPRIM_304000_NS6detail18single_scan_kernelILb0ENS1_19wrapped_scan_configINS0_14default_configEdEEPKdPdSt10multipliesIdEddEEvT1_mT4_T2_T3_
	.p2align	8
	.type	_ZN7rocprim17ROCPRIM_304000_NS6detail18single_scan_kernelILb0ENS1_19wrapped_scan_configINS0_14default_configEdEEPKdPdSt10multipliesIdEddEEvT1_mT4_T2_T3_,@function
_ZN7rocprim17ROCPRIM_304000_NS6detail18single_scan_kernelILb0ENS1_19wrapped_scan_configINS0_14default_configEdEEPKdPdSt10multipliesIdEddEEvT1_mT4_T2_T3_: ; @_ZN7rocprim17ROCPRIM_304000_NS6detail18single_scan_kernelILb0ENS1_19wrapped_scan_configINS0_14default_configEdEEPKdPdSt10multipliesIdEddEEvT1_mT4_T2_T3_
; %bb.0:
	s_load_dwordx4 s[20:23], s[4:5], 0x0
	v_lshlrev_b32_e32 v47, 3, v0
	s_waitcnt lgkmcnt(0)
	s_load_dwordx2 s[24:25], s[20:21], 0x0
	v_mov_b32_e32 v1, s21
	v_add_co_u32_e32 v3, vcc, s20, v47
	v_addc_co_u32_e32 v4, vcc, 0, v1, vcc
	s_waitcnt lgkmcnt(0)
	v_mov_b32_e32 v1, s24
	v_cmp_gt_u32_e64 s[0:1], s22, v0
	v_mov_b32_e32 v2, s25
	s_and_saveexec_b64 s[2:3], s[0:1]
	s_cbranch_execz .LBB50_2
; %bb.1:
	global_load_dwordx2 v[1:2], v[3:4], off
.LBB50_2:
	s_or_b64 exec, exec, s[2:3]
	v_or_b32_e32 v5, 0x80, v0
	v_cmp_gt_u32_e64 s[2:3], s22, v5
	v_mov_b32_e32 v5, s24
	v_mov_b32_e32 v6, s25
	s_and_saveexec_b64 s[6:7], s[2:3]
	s_cbranch_execz .LBB50_4
; %bb.3:
	global_load_dwordx2 v[5:6], v[3:4], off offset:1024
.LBB50_4:
	s_or_b64 exec, exec, s[6:7]
	v_or_b32_e32 v7, 0x100, v0
	v_cmp_gt_u32_e64 s[12:13], s22, v7
	v_mov_b32_e32 v7, s24
	v_mov_b32_e32 v8, s25
	s_and_saveexec_b64 s[6:7], s[12:13]
	s_cbranch_execz .LBB50_6
; %bb.5:
	global_load_dwordx2 v[7:8], v[3:4], off offset:2048
.LBB50_6:
	;; [unrolled: 10-line block ×3, first 2 shown]
	s_or_b64 exec, exec, s[8:9]
	v_or_b32_e32 v11, 0x200, v0
	v_cmp_gt_u32_e64 s[8:9], s22, v11
	v_mov_b32_e32 v11, s24
	v_mov_b32_e32 v12, s25
	s_and_saveexec_b64 s[10:11], s[8:9]
	s_cbranch_execz .LBB50_10
; %bb.9:
	v_add_co_u32_e32 v11, vcc, 0x1000, v3
	v_addc_co_u32_e32 v12, vcc, 0, v4, vcc
	global_load_dwordx2 v[11:12], v[11:12], off
.LBB50_10:
	s_or_b64 exec, exec, s[10:11]
	v_or_b32_e32 v13, 0x280, v0
	v_cmp_gt_u32_e64 s[10:11], s22, v13
	v_mov_b32_e32 v13, s24
	v_mov_b32_e32 v14, s25
	s_and_saveexec_b64 s[14:15], s[10:11]
	s_cbranch_execz .LBB50_12
; %bb.11:
	v_add_co_u32_e32 v13, vcc, 0x1000, v3
	v_addc_co_u32_e32 v14, vcc, 0, v4, vcc
	global_load_dwordx2 v[13:14], v[13:14], off offset:1024
.LBB50_12:
	s_or_b64 exec, exec, s[14:15]
	v_or_b32_e32 v15, 0x300, v0
	v_cmp_gt_u32_e64 s[14:15], s22, v15
	v_mov_b32_e32 v15, s24
	v_mov_b32_e32 v16, s25
	s_and_saveexec_b64 s[16:17], s[14:15]
	s_cbranch_execz .LBB50_14
; %bb.13:
	v_add_co_u32_e32 v15, vcc, 0x1000, v3
	v_addc_co_u32_e32 v16, vcc, 0, v4, vcc
	global_load_dwordx2 v[15:16], v[15:16], off offset:2048
.LBB50_14:
	;; [unrolled: 12-line block ×3, first 2 shown]
	s_or_b64 exec, exec, s[18:19]
	v_or_b32_e32 v19, 0x400, v0
	v_cmp_gt_u32_e64 s[18:19], s22, v19
	v_mov_b32_e32 v19, s24
	v_mov_b32_e32 v20, s25
	s_and_saveexec_b64 s[20:21], s[18:19]
	s_cbranch_execz .LBB50_18
; %bb.17:
	v_add_co_u32_e32 v19, vcc, 0x2000, v3
	v_addc_co_u32_e32 v20, vcc, 0, v4, vcc
	global_load_dwordx2 v[19:20], v[19:20], off
.LBB50_18:
	s_or_b64 exec, exec, s[20:21]
	v_or_b32_e32 v21, 0x480, v0
	v_cmp_gt_u32_e64 s[20:21], s22, v21
	v_mov_b32_e32 v21, s24
	v_mov_b32_e32 v22, s25
	s_and_saveexec_b64 s[22:23], s[20:21]
	s_cbranch_execz .LBB50_20
; %bb.19:
	v_add_co_u32_e32 v3, vcc, 0x2000, v3
	v_addc_co_u32_e32 v4, vcc, 0, v4, vcc
	global_load_dwordx2 v[21:22], v[3:4], off offset:1024
.LBB50_20:
	s_or_b64 exec, exec, s[22:23]
	s_movk_i32 s22, 0x48
	s_waitcnt vmcnt(0)
	ds_write2st64_b64 v47, v[1:2], v[5:6] offset1:2
	ds_write2st64_b64 v47, v[7:8], v[9:10] offset0:4 offset1:6
	ds_write2st64_b64 v47, v[11:12], v[13:14] offset0:8 offset1:10
	;; [unrolled: 1-line block ×4, first 2 shown]
	v_mad_u32_u24 v5, v0, s22, v47
	s_waitcnt lgkmcnt(0)
	s_barrier
	ds_read_b128 v[1:4], v5
	ds_read_b128 v[21:24], v5 offset:16
	ds_read_b128 v[29:32], v5 offset:32
	;; [unrolled: 1-line block ×4, first 2 shown]
	v_lshrrev_b32_e32 v37, 2, v0
	s_waitcnt lgkmcnt(4)
	v_mul_f64 v[41:42], v[1:2], v[3:4]
	v_and_b32_e32 v37, 24, v37
	v_add_u32_e32 v37, v47, v37
	v_cmp_gt_u32_e32 vcc, 64, v0
	s_waitcnt lgkmcnt(0)
	s_barrier
	v_mul_f64 v[13:14], v[41:42], v[21:22]
	v_mul_f64 v[15:16], v[13:14], v[23:24]
	;; [unrolled: 1-line block ×8, first 2 shown]
	ds_write_b64 v37, v[7:8]
	s_waitcnt lgkmcnt(0)
	s_barrier
	s_and_saveexec_b64 s[22:23], vcc
	s_cbranch_execz .LBB50_32
; %bb.21:
	v_lshrrev_b32_e32 v37, 1, v0
	v_and_b32_e32 v37, 56, v37
	v_lshlrev_b32_e32 v38, 4, v0
	v_add_u32_e32 v48, v37, v38
	ds_read2_b64 v[37:40], v48 offset1:1
	v_mbcnt_lo_u32_b32 v45, -1, 0
	v_mbcnt_hi_u32_b32 v49, -1, v45
	v_and_b32_e32 v50, 15, v49
	v_cmp_ne_u32_e32 vcc, 0, v50
	s_waitcnt lgkmcnt(0)
	v_mul_f64 v[43:44], v[37:38], v[39:40]
	s_nop 1
	v_mov_b32_dpp v45, v43 row_shr:1 row_mask:0xf bank_mask:0xf
	v_mov_b32_dpp v46, v44 row_shr:1 row_mask:0xf bank_mask:0xf
	s_and_saveexec_b64 s[24:25], vcc
; %bb.22:
	v_mul_f64 v[43:44], v[43:44], v[45:46]
; %bb.23:
	s_or_b64 exec, exec, s[24:25]
	s_nop 0
	v_mov_b32_dpp v45, v43 row_shr:2 row_mask:0xf bank_mask:0xf
	v_mov_b32_dpp v46, v44 row_shr:2 row_mask:0xf bank_mask:0xf
	v_cmp_lt_u32_e32 vcc, 1, v50
	s_and_saveexec_b64 s[24:25], vcc
; %bb.24:
	v_mul_f64 v[43:44], v[43:44], v[45:46]
; %bb.25:
	s_or_b64 exec, exec, s[24:25]
	s_nop 0
	v_mov_b32_dpp v45, v43 row_shr:4 row_mask:0xf bank_mask:0xf
	v_mov_b32_dpp v46, v44 row_shr:4 row_mask:0xf bank_mask:0xf
	v_cmp_lt_u32_e32 vcc, 3, v50
	;; [unrolled: 9-line block ×3, first 2 shown]
	s_and_saveexec_b64 s[24:25], vcc
; %bb.28:
	v_mul_f64 v[43:44], v[43:44], v[45:46]
; %bb.29:
	s_or_b64 exec, exec, s[24:25]
	v_and_b32_e32 v50, 16, v49
	v_mov_b32_dpp v45, v43 row_bcast:15 row_mask:0xf bank_mask:0xf
	v_mov_b32_dpp v46, v44 row_bcast:15 row_mask:0xf bank_mask:0xf
	v_cmp_ne_u32_e32 vcc, 0, v50
	s_and_saveexec_b64 s[24:25], vcc
; %bb.30:
	v_mul_f64 v[43:44], v[43:44], v[45:46]
; %bb.31:
	s_or_b64 exec, exec, s[24:25]
	s_nop 0
	v_mov_b32_dpp v45, v43 row_bcast:31 row_mask:0xf bank_mask:0xf
	v_mov_b32_dpp v46, v44 row_bcast:31 row_mask:0xf bank_mask:0xf
	v_mul_f64 v[45:46], v[43:44], v[45:46]
	v_add_u32_e32 v50, -1, v49
	v_and_b32_e32 v51, 64, v49
	v_cmp_lt_i32_e32 vcc, v50, v51
	v_cndmask_b32_e32 v50, v50, v49, vcc
	v_cmp_lt_u32_e32 vcc, 31, v49
	v_cndmask_b32_e32 v44, v44, v46, vcc
	v_cndmask_b32_e32 v43, v43, v45, vcc
	v_lshlrev_b32_e32 v45, 2, v50
	ds_bpermute_b32 v43, v45, v43
	ds_bpermute_b32 v44, v45, v44
	v_cmp_eq_u32_e32 vcc, 0, v0
	s_waitcnt lgkmcnt(0)
	v_mul_f64 v[37:38], v[37:38], v[43:44]
	v_cndmask_b32_e32 v38, v38, v8, vcc
	v_cndmask_b32_e32 v37, v37, v7, vcc
	v_mul_f64 v[39:40], v[39:40], v[37:38]
	ds_write2_b64 v48, v[37:38], v[39:40] offset1:1
.LBB50_32:
	s_or_b64 exec, exec, s[22:23]
	v_mul_u32_u24_e32 v37, 0x48, v0
	v_cmp_ne_u32_e32 vcc, 0, v0
	s_waitcnt lgkmcnt(0)
	s_barrier
	s_and_saveexec_b64 s[22:23], vcc
	s_cbranch_execz .LBB50_34
; %bb.33:
	v_add_u32_e32 v0, -1, v0
	v_lshrrev_b32_e32 v5, 2, v0
	v_and_b32_e32 v5, 0x3ffffff8, v5
	v_lshl_add_u32 v0, v0, 3, v5
	ds_read_b64 v[5:6], v0
	s_waitcnt lgkmcnt(0)
	v_mul_f64 v[1:2], v[1:2], v[5:6]
	v_mul_f64 v[41:42], v[3:4], v[1:2]
	;; [unrolled: 1-line block ×10, first 2 shown]
.LBB50_34:
	s_or_b64 exec, exec, s[22:23]
	v_add_u32_e32 v0, v47, v37
	v_mov_b32_e32 v3, v41
	v_mov_b32_e32 v4, v42
	s_barrier
	ds_write_b128 v0, v[1:4]
	ds_write_b128 v0, v[13:16] offset:16
	ds_write_b128 v0, v[17:20] offset:32
	;; [unrolled: 1-line block ×4, first 2 shown]
	s_waitcnt lgkmcnt(0)
	s_barrier
	ds_read2st64_b64 v[12:15], v47 offset0:2 offset1:4
	ds_read2st64_b64 v[8:11], v47 offset0:6 offset1:8
	;; [unrolled: 1-line block ×4, first 2 shown]
	ds_read_b64 v[16:17], v47 offset:9216
	s_load_dwordx2 s[4:5], s[4:5], 0x18
	s_waitcnt lgkmcnt(0)
	v_mov_b32_e32 v19, s5
	v_add_co_u32_e32 v18, vcc, s4, v47
	v_addc_co_u32_e32 v19, vcc, 0, v19, vcc
	s_and_saveexec_b64 s[4:5], s[0:1]
	s_cbranch_execnz .LBB50_45
; %bb.35:
	s_or_b64 exec, exec, s[4:5]
	s_and_saveexec_b64 s[0:1], s[2:3]
	s_cbranch_execnz .LBB50_46
.LBB50_36:
	s_or_b64 exec, exec, s[0:1]
	s_and_saveexec_b64 s[0:1], s[12:13]
	s_cbranch_execnz .LBB50_47
.LBB50_37:
	s_or_b64 exec, exec, s[0:1]
	s_and_saveexec_b64 s[0:1], s[6:7]
	s_cbranch_execnz .LBB50_48
.LBB50_38:
	s_or_b64 exec, exec, s[0:1]
	s_and_saveexec_b64 s[0:1], s[8:9]
	s_cbranch_execnz .LBB50_49
.LBB50_39:
	s_or_b64 exec, exec, s[0:1]
	s_and_saveexec_b64 s[0:1], s[10:11]
	s_cbranch_execnz .LBB50_50
.LBB50_40:
	s_or_b64 exec, exec, s[0:1]
	s_and_saveexec_b64 s[0:1], s[14:15]
	s_cbranch_execnz .LBB50_51
.LBB50_41:
	s_or_b64 exec, exec, s[0:1]
	s_and_saveexec_b64 s[0:1], s[16:17]
	s_cbranch_execnz .LBB50_52
.LBB50_42:
	s_or_b64 exec, exec, s[0:1]
	s_and_saveexec_b64 s[0:1], s[18:19]
	s_cbranch_execnz .LBB50_53
.LBB50_43:
	s_or_b64 exec, exec, s[0:1]
	s_and_saveexec_b64 s[0:1], s[20:21]
	s_cbranch_execnz .LBB50_54
.LBB50_44:
	s_endpgm
.LBB50_45:
	ds_read_b64 v[20:21], v47
	s_waitcnt lgkmcnt(0)
	global_store_dwordx2 v[18:19], v[20:21], off
	s_or_b64 exec, exec, s[4:5]
	s_and_saveexec_b64 s[0:1], s[2:3]
	s_cbranch_execz .LBB50_36
.LBB50_46:
	global_store_dwordx2 v[18:19], v[12:13], off offset:1024
	s_or_b64 exec, exec, s[0:1]
	s_and_saveexec_b64 s[0:1], s[12:13]
	s_cbranch_execz .LBB50_37
.LBB50_47:
	global_store_dwordx2 v[18:19], v[14:15], off offset:2048
	s_or_b64 exec, exec, s[0:1]
	s_and_saveexec_b64 s[0:1], s[6:7]
	s_cbranch_execz .LBB50_38
.LBB50_48:
	global_store_dwordx2 v[18:19], v[8:9], off offset:3072
	s_or_b64 exec, exec, s[0:1]
	s_and_saveexec_b64 s[0:1], s[8:9]
	s_cbranch_execz .LBB50_39
.LBB50_49:
	v_add_co_u32_e32 v8, vcc, 0x1000, v18
	v_addc_co_u32_e32 v9, vcc, 0, v19, vcc
	global_store_dwordx2 v[8:9], v[10:11], off
	s_or_b64 exec, exec, s[0:1]
	s_and_saveexec_b64 s[0:1], s[10:11]
	s_cbranch_execz .LBB50_40
.LBB50_50:
	v_add_co_u32_e32 v8, vcc, 0x1000, v18
	v_addc_co_u32_e32 v9, vcc, 0, v19, vcc
	global_store_dwordx2 v[8:9], v[4:5], off offset:1024
	s_or_b64 exec, exec, s[0:1]
	s_and_saveexec_b64 s[0:1], s[14:15]
	s_cbranch_execz .LBB50_41
.LBB50_51:
	v_add_co_u32_e32 v4, vcc, 0x1000, v18
	v_addc_co_u32_e32 v5, vcc, 0, v19, vcc
	global_store_dwordx2 v[4:5], v[6:7], off offset:2048
	s_or_b64 exec, exec, s[0:1]
	s_and_saveexec_b64 s[0:1], s[16:17]
	s_cbranch_execz .LBB50_42
.LBB50_52:
	v_add_co_u32_e32 v4, vcc, 0x1000, v18
	v_addc_co_u32_e32 v5, vcc, 0, v19, vcc
	global_store_dwordx2 v[4:5], v[0:1], off offset:3072
	s_or_b64 exec, exec, s[0:1]
	s_and_saveexec_b64 s[0:1], s[18:19]
	s_cbranch_execz .LBB50_43
.LBB50_53:
	v_add_co_u32_e32 v0, vcc, 0x2000, v18
	v_addc_co_u32_e32 v1, vcc, 0, v19, vcc
	global_store_dwordx2 v[0:1], v[2:3], off
	s_or_b64 exec, exec, s[0:1]
	s_and_saveexec_b64 s[0:1], s[20:21]
	s_cbranch_execz .LBB50_44
.LBB50_54:
	v_add_co_u32_e32 v0, vcc, 0x2000, v18
	v_addc_co_u32_e32 v1, vcc, 0, v19, vcc
	global_store_dwordx2 v[0:1], v[16:17], off offset:1024
	s_endpgm
	.section	.rodata,"a",@progbits
	.p2align	6, 0x0
	.amdhsa_kernel _ZN7rocprim17ROCPRIM_304000_NS6detail18single_scan_kernelILb0ENS1_19wrapped_scan_configINS0_14default_configEdEEPKdPdSt10multipliesIdEddEEvT1_mT4_T2_T3_
		.amdhsa_group_segment_fixed_size 10240
		.amdhsa_private_segment_fixed_size 0
		.amdhsa_kernarg_size 36
		.amdhsa_user_sgpr_count 6
		.amdhsa_user_sgpr_private_segment_buffer 1
		.amdhsa_user_sgpr_dispatch_ptr 0
		.amdhsa_user_sgpr_queue_ptr 0
		.amdhsa_user_sgpr_kernarg_segment_ptr 1
		.amdhsa_user_sgpr_dispatch_id 0
		.amdhsa_user_sgpr_flat_scratch_init 0
		.amdhsa_user_sgpr_private_segment_size 0
		.amdhsa_uses_dynamic_stack 0
		.amdhsa_system_sgpr_private_segment_wavefront_offset 0
		.amdhsa_system_sgpr_workgroup_id_x 1
		.amdhsa_system_sgpr_workgroup_id_y 0
		.amdhsa_system_sgpr_workgroup_id_z 0
		.amdhsa_system_sgpr_workgroup_info 0
		.amdhsa_system_vgpr_workitem_id 0
		.amdhsa_next_free_vgpr 65
		.amdhsa_next_free_sgpr 98
		.amdhsa_reserve_vcc 1
		.amdhsa_reserve_flat_scratch 0
		.amdhsa_float_round_mode_32 0
		.amdhsa_float_round_mode_16_64 0
		.amdhsa_float_denorm_mode_32 3
		.amdhsa_float_denorm_mode_16_64 3
		.amdhsa_dx10_clamp 1
		.amdhsa_ieee_mode 1
		.amdhsa_fp16_overflow 0
		.amdhsa_exception_fp_ieee_invalid_op 0
		.amdhsa_exception_fp_denorm_src 0
		.amdhsa_exception_fp_ieee_div_zero 0
		.amdhsa_exception_fp_ieee_overflow 0
		.amdhsa_exception_fp_ieee_underflow 0
		.amdhsa_exception_fp_ieee_inexact 0
		.amdhsa_exception_int_div_zero 0
	.end_amdhsa_kernel
	.section	.text._ZN7rocprim17ROCPRIM_304000_NS6detail18single_scan_kernelILb0ENS1_19wrapped_scan_configINS0_14default_configEdEEPKdPdSt10multipliesIdEddEEvT1_mT4_T2_T3_,"axG",@progbits,_ZN7rocprim17ROCPRIM_304000_NS6detail18single_scan_kernelILb0ENS1_19wrapped_scan_configINS0_14default_configEdEEPKdPdSt10multipliesIdEddEEvT1_mT4_T2_T3_,comdat
.Lfunc_end50:
	.size	_ZN7rocprim17ROCPRIM_304000_NS6detail18single_scan_kernelILb0ENS1_19wrapped_scan_configINS0_14default_configEdEEPKdPdSt10multipliesIdEddEEvT1_mT4_T2_T3_, .Lfunc_end50-_ZN7rocprim17ROCPRIM_304000_NS6detail18single_scan_kernelILb0ENS1_19wrapped_scan_configINS0_14default_configEdEEPKdPdSt10multipliesIdEddEEvT1_mT4_T2_T3_
                                        ; -- End function
	.set _ZN7rocprim17ROCPRIM_304000_NS6detail18single_scan_kernelILb0ENS1_19wrapped_scan_configINS0_14default_configEdEEPKdPdSt10multipliesIdEddEEvT1_mT4_T2_T3_.num_vgpr, 52
	.set _ZN7rocprim17ROCPRIM_304000_NS6detail18single_scan_kernelILb0ENS1_19wrapped_scan_configINS0_14default_configEdEEPKdPdSt10multipliesIdEddEEvT1_mT4_T2_T3_.num_agpr, 0
	.set _ZN7rocprim17ROCPRIM_304000_NS6detail18single_scan_kernelILb0ENS1_19wrapped_scan_configINS0_14default_configEdEEPKdPdSt10multipliesIdEddEEvT1_mT4_T2_T3_.numbered_sgpr, 26
	.set _ZN7rocprim17ROCPRIM_304000_NS6detail18single_scan_kernelILb0ENS1_19wrapped_scan_configINS0_14default_configEdEEPKdPdSt10multipliesIdEddEEvT1_mT4_T2_T3_.num_named_barrier, 0
	.set _ZN7rocprim17ROCPRIM_304000_NS6detail18single_scan_kernelILb0ENS1_19wrapped_scan_configINS0_14default_configEdEEPKdPdSt10multipliesIdEddEEvT1_mT4_T2_T3_.private_seg_size, 0
	.set _ZN7rocprim17ROCPRIM_304000_NS6detail18single_scan_kernelILb0ENS1_19wrapped_scan_configINS0_14default_configEdEEPKdPdSt10multipliesIdEddEEvT1_mT4_T2_T3_.uses_vcc, 1
	.set _ZN7rocprim17ROCPRIM_304000_NS6detail18single_scan_kernelILb0ENS1_19wrapped_scan_configINS0_14default_configEdEEPKdPdSt10multipliesIdEddEEvT1_mT4_T2_T3_.uses_flat_scratch, 0
	.set _ZN7rocprim17ROCPRIM_304000_NS6detail18single_scan_kernelILb0ENS1_19wrapped_scan_configINS0_14default_configEdEEPKdPdSt10multipliesIdEddEEvT1_mT4_T2_T3_.has_dyn_sized_stack, 0
	.set _ZN7rocprim17ROCPRIM_304000_NS6detail18single_scan_kernelILb0ENS1_19wrapped_scan_configINS0_14default_configEdEEPKdPdSt10multipliesIdEddEEvT1_mT4_T2_T3_.has_recursion, 0
	.set _ZN7rocprim17ROCPRIM_304000_NS6detail18single_scan_kernelILb0ENS1_19wrapped_scan_configINS0_14default_configEdEEPKdPdSt10multipliesIdEddEEvT1_mT4_T2_T3_.has_indirect_call, 0
	.section	.AMDGPU.csdata,"",@progbits
; Kernel info:
; codeLenInByte = 1820
; TotalNumSgprs: 30
; NumVgprs: 52
; ScratchSize: 0
; MemoryBound: 0
; FloatMode: 240
; IeeeMode: 1
; LDSByteSize: 10240 bytes/workgroup (compile time only)
; SGPRBlocks: 12
; VGPRBlocks: 16
; NumSGPRsForWavesPerEU: 102
; NumVGPRsForWavesPerEU: 65
; Occupancy: 3
; WaveLimiterHint : 0
; COMPUTE_PGM_RSRC2:SCRATCH_EN: 0
; COMPUTE_PGM_RSRC2:USER_SGPR: 6
; COMPUTE_PGM_RSRC2:TRAP_HANDLER: 0
; COMPUTE_PGM_RSRC2:TGID_X_EN: 1
; COMPUTE_PGM_RSRC2:TGID_Y_EN: 0
; COMPUTE_PGM_RSRC2:TGID_Z_EN: 0
; COMPUTE_PGM_RSRC2:TIDIG_COMP_CNT: 0
	.section	.text._ZN2at6native32tensor_kernel_scan_innermost_dimIdSt10multipliesIdEEEvPT_PKS4_jjjS4_T0_,"axG",@progbits,_ZN2at6native32tensor_kernel_scan_innermost_dimIdSt10multipliesIdEEEvPT_PKS4_jjjS4_T0_,comdat
	.protected	_ZN2at6native32tensor_kernel_scan_innermost_dimIdSt10multipliesIdEEEvPT_PKS4_jjjS4_T0_ ; -- Begin function _ZN2at6native32tensor_kernel_scan_innermost_dimIdSt10multipliesIdEEEvPT_PKS4_jjjS4_T0_
	.globl	_ZN2at6native32tensor_kernel_scan_innermost_dimIdSt10multipliesIdEEEvPT_PKS4_jjjS4_T0_
	.p2align	8
	.type	_ZN2at6native32tensor_kernel_scan_innermost_dimIdSt10multipliesIdEEEvPT_PKS4_jjjS4_T0_,@function
_ZN2at6native32tensor_kernel_scan_innermost_dimIdSt10multipliesIdEEEvPT_PKS4_jjjS4_T0_: ; @_ZN2at6native32tensor_kernel_scan_innermost_dimIdSt10multipliesIdEEEvPT_PKS4_jjjS4_T0_
; %bb.0:
	s_load_dwordx8 s[12:19], s[4:5], 0x0
	v_mov_b32_e32 v2, v1
	s_load_dwordx2 s[20:21], s[4:5], 0x20
	s_waitcnt lgkmcnt(0)
	s_lshl_b32 s7, 2, s18
	v_mul_lo_u32 v1, s7, v2
	s_mul_hi_u32 s0, s16, s17
	s_cmp_lg_u32 s0, 0
	s_mov_b64 s[0:1], -1
	v_lshl_add_u32 v11, v1, 3, 0
	s_cbranch_scc1 .LBB51_26
; %bb.1:
	s_load_dword s2, s[4:5], 0x3c
	s_add_u32 s0, s4, 48
	s_addc_u32 s1, s5, 0
	s_waitcnt lgkmcnt(0)
	s_lshr_b32 s2, s2, 16
	s_mul_i32 s19, s6, s2
	s_cmp_ge_u32 s19, s16
	s_cbranch_scc1 .LBB51_25
; %bb.2:
	s_load_dword s27, s[0:1], 0x0
	s_lshl_b32 s26, 1, s18
	s_cmp_lg_u32 s17, 0
	s_cselect_b64 s[8:9], -1, 0
	v_lshl_add_u32 v1, v0, 3, v11
	s_lshl_b32 s3, s7, 3
	v_cndmask_b32_e64 v3, 0, 1, s[8:9]
	v_lshl_add_u32 v12, s26, 3, v1
	v_cmp_eq_u32_e64 s[0:1], 0, v0
	v_add3_u32 v13, v11, s3, -8
	s_waitcnt lgkmcnt(0)
	s_mul_i32 s27, s27, s2
	s_add_i32 s28, s18, 1
	v_cmp_ne_u32_e64 s[2:3], 1, v3
	v_mov_b32_e32 v4, 0
	s_branch .LBB51_4
.LBB51_3:                               ;   in Loop: Header=BB51_4 Depth=1
	s_add_i32 s19, s19, s27
	s_cmp_ge_u32 s19, s16
	s_cbranch_scc1 .LBB51_25
.LBB51_4:                               ; =>This Loop Header: Depth=1
                                        ;     Child Loop BB51_7 Depth 2
                                        ;       Child Loop BB51_16 Depth 3
	s_and_b64 vcc, exec, s[2:3]
	s_cbranch_vccnz .LBB51_3
; %bb.5:                                ;   in Loop: Header=BB51_4 Depth=1
	v_add_u32_e32 v7, s19, v2
	v_mul_lo_u32 v3, v7, s17
	v_mov_b32_e32 v8, s15
	v_cmp_le_u32_e64 s[8:9], s16, v7
	s_mov_b32 s29, 0
	v_lshlrev_b64 v[5:6], 3, v[3:4]
	v_mov_b32_e32 v3, s13
	v_add_co_u32_e32 v14, vcc, s14, v5
	v_addc_co_u32_e32 v15, vcc, v8, v6, vcc
	v_add_co_u32_e32 v16, vcc, s12, v5
	v_addc_co_u32_e32 v17, vcc, v3, v6, vcc
	v_cmp_gt_u32_e32 vcc, s16, v7
	v_mov_b32_e32 v7, s20
	v_mov_b32_e32 v8, s21
	s_branch .LBB51_7
.LBB51_6:                               ;   in Loop: Header=BB51_7 Depth=2
	s_or_b64 exec, exec, s[22:23]
	ds_read_b64 v[7:8], v13
	s_add_i32 s29, s29, s7
	s_cmp_ge_u32 s29, s17
	s_waitcnt vmcnt(0) lgkmcnt(0)
	s_barrier
	s_cbranch_scc1 .LBB51_3
.LBB51_7:                               ;   Parent Loop BB51_4 Depth=1
                                        ; =>  This Loop Header: Depth=2
                                        ;       Child Loop BB51_16 Depth 3
	v_add_u32_e32 v3, s29, v0
	v_add_u32_e32 v5, s26, v3
	s_and_saveexec_b64 s[22:23], vcc
	s_cbranch_execz .LBB51_14
; %bb.8:                                ;   in Loop: Header=BB51_7 Depth=2
	v_mov_b32_e32 v9, s20
	v_cmp_gt_u32_e64 s[10:11], s17, v3
	v_mov_b32_e32 v10, s21
	s_and_saveexec_b64 s[24:25], s[10:11]
	s_cbranch_execz .LBB51_10
; %bb.9:                                ;   in Loop: Header=BB51_7 Depth=2
	v_lshlrev_b64 v[9:10], 3, v[3:4]
	v_add_co_u32_e64 v9, s[10:11], v14, v9
	v_addc_co_u32_e64 v10, s[10:11], v15, v10, s[10:11]
	global_load_dwordx2 v[9:10], v[9:10], off
.LBB51_10:                              ;   in Loop: Header=BB51_7 Depth=2
	s_or_b64 exec, exec, s[24:25]
	s_waitcnt vmcnt(0)
	ds_write_b64 v1, v[9:10]
	v_mov_b32_e32 v9, s20
	v_cmp_gt_u32_e64 s[10:11], s17, v5
	v_mov_b32_e32 v10, s21
	s_and_saveexec_b64 s[24:25], s[10:11]
	s_cbranch_execz .LBB51_12
; %bb.11:                               ;   in Loop: Header=BB51_7 Depth=2
	v_mov_b32_e32 v6, v4
	v_lshlrev_b64 v[9:10], 3, v[5:6]
	v_add_co_u32_e64 v9, s[10:11], v14, v9
	v_addc_co_u32_e64 v10, s[10:11], v15, v10, s[10:11]
	global_load_dwordx2 v[9:10], v[9:10], off
.LBB51_12:                              ;   in Loop: Header=BB51_7 Depth=2
	s_or_b64 exec, exec, s[24:25]
	s_waitcnt vmcnt(0)
	ds_write_b64 v12, v[9:10]
	s_and_b64 exec, exec, s[0:1]
	s_cbranch_execz .LBB51_14
; %bb.13:                               ;   in Loop: Header=BB51_7 Depth=2
	ds_read_b64 v[9:10], v11
	s_waitcnt lgkmcnt(0)
	v_mul_f64 v[6:7], v[7:8], v[9:10]
	ds_write_b64 v11, v[6:7]
.LBB51_14:                              ;   in Loop: Header=BB51_7 Depth=2
	s_or_b64 exec, exec, s[22:23]
	v_mov_b32_e32 v6, 0
	s_mov_b64 s[22:23], 0
	s_waitcnt lgkmcnt(0)
	s_barrier
	s_branch .LBB51_16
.LBB51_15:                              ;   in Loop: Header=BB51_16 Depth=3
	s_or_b64 exec, exec, s[10:11]
	v_cmp_eq_u32_e64 s[10:11], s28, v6
	s_or_b64 s[22:23], s[10:11], s[22:23]
	s_waitcnt lgkmcnt(0)
	s_barrier
	s_andn2_b64 exec, exec, s[22:23]
	s_cbranch_execz .LBB51_20
.LBB51_16:                              ;   Parent Loop BB51_4 Depth=1
                                        ;     Parent Loop BB51_7 Depth=2
                                        ; =>    This Inner Loop Header: Depth=3
	v_add_u32_e32 v7, 1, v6
	s_and_saveexec_b64 s[10:11], s[8:9]
	s_xor_b64 s[10:11], exec, s[10:11]
; %bb.17:                               ;   in Loop: Header=BB51_16 Depth=3
	v_add_u32_e32 v6, 1, v6
                                        ; implicit-def: $vgpr7
; %bb.18:                               ;   in Loop: Header=BB51_16 Depth=3
	s_andn2_saveexec_b64 s[10:11], s[10:11]
	s_cbranch_execz .LBB51_15
; %bb.19:                               ;   in Loop: Header=BB51_16 Depth=3
	v_lshlrev_b32_e64 v8, v6, 1
	v_lshrrev_b32_e32 v9, v6, v0
	v_lshl_or_b32 v8, v9, v7, v8
	v_bfm_b32 v6, v6, 0
	v_and_b32_e32 v6, v6, v0
	v_lshl_add_u32 v8, v8, 3, v11
	v_lshl_add_u32 v6, v6, 3, v8
	v_add_u32_e32 v10, -8, v8
	ds_read_b64 v[8:9], v6
	ds_read_b64 v[18:19], v10
	s_waitcnt lgkmcnt(0)
	v_mul_f64 v[8:9], v[8:9], v[18:19]
	ds_write_b64 v6, v[8:9]
	v_mov_b32_e32 v6, v7
	s_branch .LBB51_15
.LBB51_20:                              ;   in Loop: Header=BB51_7 Depth=2
	s_or_b64 exec, exec, s[22:23]
	s_and_saveexec_b64 s[22:23], vcc
	s_cbranch_execz .LBB51_6
; %bb.21:                               ;   in Loop: Header=BB51_7 Depth=2
	v_cmp_gt_u32_e64 s[10:11], s17, v3
	s_and_saveexec_b64 s[24:25], s[10:11]
	s_cbranch_execz .LBB51_23
; %bb.22:                               ;   in Loop: Header=BB51_7 Depth=2
	ds_read_b64 v[8:9], v1
	v_lshlrev_b64 v[6:7], 3, v[3:4]
	v_add_co_u32_e64 v6, s[10:11], v16, v6
	v_addc_co_u32_e64 v7, s[10:11], v17, v7, s[10:11]
	s_waitcnt lgkmcnt(0)
	global_store_dwordx2 v[6:7], v[8:9], off
.LBB51_23:                              ;   in Loop: Header=BB51_7 Depth=2
	s_or_b64 exec, exec, s[24:25]
	v_cmp_gt_u32_e64 s[10:11], s17, v5
	s_and_b64 exec, exec, s[10:11]
	s_cbranch_execz .LBB51_6
; %bb.24:                               ;   in Loop: Header=BB51_7 Depth=2
	v_mov_b32_e32 v6, v4
	ds_read_b64 v[7:8], v12
	v_lshlrev_b64 v[5:6], 3, v[5:6]
	v_add_co_u32_e64 v5, s[10:11], v16, v5
	v_addc_co_u32_e64 v6, s[10:11], v17, v6, s[10:11]
	s_waitcnt lgkmcnt(0)
	global_store_dwordx2 v[5:6], v[7:8], off
	s_branch .LBB51_6
.LBB51_25:
	s_mov_b64 s[0:1], 0
.LBB51_26:
	s_andn2_b64 vcc, exec, s[0:1]
	s_cbranch_vccnz .LBB51_53
; %bb.27:
	s_load_dword s2, s[4:5], 0x3c
	s_add_u32 s0, s4, 48
	s_mov_b32 s8, s16
	s_mov_b32 s9, 0
	s_addc_u32 s1, s5, 0
	s_waitcnt lgkmcnt(0)
	s_lshr_b32 s2, s2, 16
	v_mov_b32_e32 v3, s8
	s_mul_hi_u32 s11, s2, s6
	s_mul_i32 s10, s2, s6
	v_mov_b32_e32 v4, s9
	v_cmp_ge_u64_e32 vcc, s[10:11], v[3:4]
	s_cbranch_vccnz .LBB51_53
; %bb.28:
	s_lshl_b32 s22, 1, s18
	s_load_dword s5, s[0:1], 0x0
	s_and_b32 s4, 0xffff, s2
	s_ashr_i32 s23, s22, 31
	s_cmp_lg_u32 s17, 0
	s_mov_b32 s24, s17
	s_cselect_b64 s[2:3], -1, 0
	s_lshl_b64 s[16:17], s[22:23], 1
	v_lshl_add_u32 v12, v0, 3, v11
	s_lshl_b32 s6, s16, 3
	v_cndmask_b32_e64 v3, 0, 1, s[2:3]
	v_mov_b32_e32 v1, 0
	s_mov_b32 s25, s9
	v_lshl_add_u32 v13, s22, 3, v12
	v_cmp_eq_u32_e64 s[0:1], 0, v0
	v_add3_u32 v14, v11, s6, -8
	s_waitcnt lgkmcnt(0)
	s_mul_i32 s33, s5, s4
	s_add_i32 s34, s18, 1
	v_cmp_ne_u32_e64 s[2:3], 1, v3
	s_branch .LBB51_30
.LBB51_29:                              ;   in Loop: Header=BB51_30 Depth=1
	s_add_u32 s10, s10, s33
	v_mov_b32_e32 v3, s8
	s_addc_u32 s11, s11, 0
	v_mov_b32_e32 v4, s9
	v_cmp_ge_u64_e32 vcc, s[10:11], v[3:4]
	s_cbranch_vccnz .LBB51_53
.LBB51_30:                              ; =>This Loop Header: Depth=1
                                        ;     Child Loop BB51_33 Depth 2
                                        ;       Child Loop BB51_43 Depth 3
	s_and_b64 vcc, exec, s[2:3]
	s_cbranch_vccnz .LBB51_29
; %bb.31:                               ;   in Loop: Header=BB51_30 Depth=1
	v_add_co_u32_e32 v3, vcc, s10, v2
	v_mad_u64_u32 v[5:6], s[4:5], v3, s24, 0
	v_mov_b32_e32 v4, s11
	v_addc_co_u32_e32 v4, vcc, 0, v4, vcc
	v_mad_u64_u32 v[6:7], s[4:5], v4, s24, v[6:7]
	v_mov_b32_e32 v7, s15
	v_cmp_gt_u64_e64 s[4:5], s[8:9], v[3:4]
	v_lshlrev_b64 v[5:6], 3, v[5:6]
	v_cmp_le_u64_e64 s[6:7], s[8:9], v[3:4]
	v_add_co_u32_e32 v15, vcc, s14, v5
	v_addc_co_u32_e32 v16, vcc, v7, v6, vcc
	v_mov_b32_e32 v7, s13
	v_add_co_u32_e32 v17, vcc, s12, v5
	v_addc_co_u32_e32 v18, vcc, v7, v6, vcc
	v_mov_b32_e32 v7, s20
	s_mov_b64 s[18:19], 0
	v_mov_b32_e32 v8, s21
	s_branch .LBB51_33
.LBB51_32:                              ;   in Loop: Header=BB51_33 Depth=2
	s_or_b64 exec, exec, s[26:27]
	ds_read_b64 v[7:8], v14
	s_add_u32 s18, s18, s16
	v_mov_b32_e32 v3, s24
	s_addc_u32 s19, s19, s17
	v_mov_b32_e32 v4, s25
	v_cmp_ge_u64_e32 vcc, s[18:19], v[3:4]
	s_waitcnt lgkmcnt(0)
	s_waitcnt vmcnt(0)
	s_barrier
	s_cbranch_vccnz .LBB51_29
.LBB51_33:                              ;   Parent Loop BB51_30 Depth=1
                                        ; =>  This Loop Header: Depth=2
                                        ;       Child Loop BB51_43 Depth 3
	v_mov_b32_e32 v3, s19
	v_add_co_u32_e32 v5, vcc, s18, v0
	v_addc_co_u32_e32 v6, vcc, 0, v3, vcc
	v_mov_b32_e32 v4, s23
	v_add_co_u32_e32 v3, vcc, s22, v5
	v_addc_co_u32_e32 v4, vcc, v6, v4, vcc
	s_and_saveexec_b64 s[26:27], s[4:5]
	s_cbranch_execz .LBB51_40
; %bb.34:                               ;   in Loop: Header=BB51_33 Depth=2
	v_cmp_gt_u64_e32 vcc, s[24:25], v[5:6]
	v_mov_b32_e32 v9, s20
	v_mov_b32_e32 v10, s21
	s_and_saveexec_b64 s[28:29], vcc
	s_cbranch_execz .LBB51_36
; %bb.35:                               ;   in Loop: Header=BB51_33 Depth=2
	v_lshlrev_b64 v[9:10], 3, v[5:6]
	v_add_co_u32_e32 v9, vcc, v15, v9
	v_addc_co_u32_e32 v10, vcc, v16, v10, vcc
	global_load_dwordx2 v[9:10], v[9:10], off
.LBB51_36:                              ;   in Loop: Header=BB51_33 Depth=2
	s_or_b64 exec, exec, s[28:29]
	s_waitcnt vmcnt(0)
	ds_write_b64 v12, v[9:10]
	v_cmp_gt_u64_e32 vcc, s[24:25], v[3:4]
	v_mov_b32_e32 v9, s20
	v_mov_b32_e32 v10, s21
	s_and_saveexec_b64 s[28:29], vcc
	s_cbranch_execz .LBB51_38
; %bb.37:                               ;   in Loop: Header=BB51_33 Depth=2
	v_lshlrev_b64 v[9:10], 3, v[3:4]
	v_add_co_u32_e32 v9, vcc, v15, v9
	v_addc_co_u32_e32 v10, vcc, v16, v10, vcc
	global_load_dwordx2 v[9:10], v[9:10], off
.LBB51_38:                              ;   in Loop: Header=BB51_33 Depth=2
	s_or_b64 exec, exec, s[28:29]
	s_waitcnt vmcnt(0)
	ds_write_b64 v13, v[9:10]
	s_and_b64 exec, exec, s[0:1]
	s_cbranch_execz .LBB51_40
; %bb.39:                               ;   in Loop: Header=BB51_33 Depth=2
	ds_read_b64 v[9:10], v11
	s_waitcnt lgkmcnt(0)
	v_mul_f64 v[7:8], v[7:8], v[9:10]
	ds_write_b64 v11, v[7:8]
.LBB51_40:                              ;   in Loop: Header=BB51_33 Depth=2
	s_or_b64 exec, exec, s[26:27]
	v_mov_b32_e32 v19, 0
	s_mov_b64 s[26:27], 0
	s_waitcnt lgkmcnt(0)
	s_barrier
	s_branch .LBB51_43
.LBB51_41:                              ;   in Loop: Header=BB51_43 Depth=3
	s_or_b64 exec, exec, s[30:31]
	v_lshrrev_b32_e32 v9, v19, v0
	v_lshl_or_b32 v7, v9, v10, v7
	v_lshl_add_u32 v7, v7, 3, v11
	v_lshl_add_u32 v9, v8, 3, v7
	v_add_u32_e32 v19, -8, v7
	ds_read_b64 v[7:8], v9
	ds_read_b64 v[19:20], v19
	s_waitcnt lgkmcnt(0)
	v_mul_f64 v[7:8], v[7:8], v[19:20]
	ds_write_b64 v9, v[7:8]
.LBB51_42:                              ;   in Loop: Header=BB51_43 Depth=3
	s_or_b64 exec, exec, s[28:29]
	v_cmp_eq_u32_e32 vcc, s34, v10
	s_or_b64 s[26:27], vcc, s[26:27]
	v_mov_b32_e32 v19, v10
	s_waitcnt lgkmcnt(0)
	s_barrier
	s_andn2_b64 exec, exec, s[26:27]
	s_cbranch_execz .LBB51_48
.LBB51_43:                              ;   Parent Loop BB51_30 Depth=1
                                        ;     Parent Loop BB51_33 Depth=2
                                        ; =>    This Inner Loop Header: Depth=3
	v_add_u32_e32 v10, 1, v19
	s_and_saveexec_b64 s[28:29], s[6:7]
	s_xor_b64 s[28:29], exec, s[28:29]
; %bb.44:                               ;   in Loop: Header=BB51_43 Depth=3
	v_add_u32_e32 v10, 1, v19
                                        ; implicit-def: $vgpr19
; %bb.45:                               ;   in Loop: Header=BB51_43 Depth=3
	s_andn2_saveexec_b64 s[28:29], s[28:29]
	s_cbranch_execz .LBB51_42
; %bb.46:                               ;   in Loop: Header=BB51_43 Depth=3
	v_lshlrev_b32_e64 v7, v19, 1
	v_ashrrev_i32_e32 v8, 31, v7
	v_cmp_ge_u64_e32 vcc, v[0:1], v[7:8]
	v_mov_b32_e32 v9, v1
	v_mov_b32_e32 v8, v0
	s_and_saveexec_b64 s[30:31], vcc
	s_cbranch_execz .LBB51_41
; %bb.47:                               ;   in Loop: Header=BB51_43 Depth=3
	v_cvt_f32_u32_e32 v8, v7
	v_sub_u32_e32 v9, 0, v7
	v_rcp_iflag_f32_e32 v8, v8
	v_mul_f32_e32 v8, 0x4f7ffffe, v8
	v_cvt_u32_f32_e32 v8, v8
	v_mul_lo_u32 v9, v9, v8
	v_mul_hi_u32 v9, v8, v9
	v_add_u32_e32 v8, v8, v9
	v_mul_hi_u32 v8, v0, v8
	v_mul_lo_u32 v8, v8, v7
	v_sub_u32_e32 v8, v0, v8
	v_sub_u32_e32 v9, v8, v7
	v_cmp_ge_u32_e32 vcc, v8, v7
	v_cndmask_b32_e32 v8, v8, v9, vcc
	v_sub_u32_e32 v9, v8, v7
	v_cmp_ge_u32_e32 vcc, v8, v7
	v_cndmask_b32_e32 v8, v8, v9, vcc
	s_branch .LBB51_41
.LBB51_48:                              ;   in Loop: Header=BB51_33 Depth=2
	s_or_b64 exec, exec, s[26:27]
	s_and_saveexec_b64 s[26:27], s[4:5]
	s_cbranch_execz .LBB51_32
; %bb.49:                               ;   in Loop: Header=BB51_33 Depth=2
	v_cmp_gt_u64_e32 vcc, s[24:25], v[5:6]
	s_and_saveexec_b64 s[28:29], vcc
	s_cbranch_execz .LBB51_51
; %bb.50:                               ;   in Loop: Header=BB51_33 Depth=2
	ds_read_b64 v[7:8], v12
	v_lshlrev_b64 v[5:6], 3, v[5:6]
	v_add_co_u32_e32 v5, vcc, v17, v5
	v_addc_co_u32_e32 v6, vcc, v18, v6, vcc
	s_waitcnt lgkmcnt(0)
	global_store_dwordx2 v[5:6], v[7:8], off
.LBB51_51:                              ;   in Loop: Header=BB51_33 Depth=2
	s_or_b64 exec, exec, s[28:29]
	v_cmp_gt_u64_e32 vcc, s[24:25], v[3:4]
	s_and_b64 exec, exec, vcc
	s_cbranch_execz .LBB51_32
; %bb.52:                               ;   in Loop: Header=BB51_33 Depth=2
	ds_read_b64 v[5:6], v13
	v_lshlrev_b64 v[3:4], 3, v[3:4]
	v_add_co_u32_e32 v3, vcc, v17, v3
	v_addc_co_u32_e32 v4, vcc, v18, v4, vcc
	s_waitcnt lgkmcnt(0)
	global_store_dwordx2 v[3:4], v[5:6], off
	s_branch .LBB51_32
.LBB51_53:
	s_endpgm
	.section	.rodata,"a",@progbits
	.p2align	6, 0x0
	.amdhsa_kernel _ZN2at6native32tensor_kernel_scan_innermost_dimIdSt10multipliesIdEEEvPT_PKS4_jjjS4_T0_
		.amdhsa_group_segment_fixed_size 0
		.amdhsa_private_segment_fixed_size 0
		.amdhsa_kernarg_size 304
		.amdhsa_user_sgpr_count 6
		.amdhsa_user_sgpr_private_segment_buffer 1
		.amdhsa_user_sgpr_dispatch_ptr 0
		.amdhsa_user_sgpr_queue_ptr 0
		.amdhsa_user_sgpr_kernarg_segment_ptr 1
		.amdhsa_user_sgpr_dispatch_id 0
		.amdhsa_user_sgpr_flat_scratch_init 0
		.amdhsa_user_sgpr_private_segment_size 0
		.amdhsa_uses_dynamic_stack 0
		.amdhsa_system_sgpr_private_segment_wavefront_offset 0
		.amdhsa_system_sgpr_workgroup_id_x 1
		.amdhsa_system_sgpr_workgroup_id_y 0
		.amdhsa_system_sgpr_workgroup_id_z 0
		.amdhsa_system_sgpr_workgroup_info 0
		.amdhsa_system_vgpr_workitem_id 1
		.amdhsa_next_free_vgpr 21
		.amdhsa_next_free_sgpr 35
		.amdhsa_reserve_vcc 1
		.amdhsa_reserve_flat_scratch 0
		.amdhsa_float_round_mode_32 0
		.amdhsa_float_round_mode_16_64 0
		.amdhsa_float_denorm_mode_32 3
		.amdhsa_float_denorm_mode_16_64 3
		.amdhsa_dx10_clamp 1
		.amdhsa_ieee_mode 1
		.amdhsa_fp16_overflow 0
		.amdhsa_exception_fp_ieee_invalid_op 0
		.amdhsa_exception_fp_denorm_src 0
		.amdhsa_exception_fp_ieee_div_zero 0
		.amdhsa_exception_fp_ieee_overflow 0
		.amdhsa_exception_fp_ieee_underflow 0
		.amdhsa_exception_fp_ieee_inexact 0
		.amdhsa_exception_int_div_zero 0
	.end_amdhsa_kernel
	.section	.text._ZN2at6native32tensor_kernel_scan_innermost_dimIdSt10multipliesIdEEEvPT_PKS4_jjjS4_T0_,"axG",@progbits,_ZN2at6native32tensor_kernel_scan_innermost_dimIdSt10multipliesIdEEEvPT_PKS4_jjjS4_T0_,comdat
.Lfunc_end51:
	.size	_ZN2at6native32tensor_kernel_scan_innermost_dimIdSt10multipliesIdEEEvPT_PKS4_jjjS4_T0_, .Lfunc_end51-_ZN2at6native32tensor_kernel_scan_innermost_dimIdSt10multipliesIdEEEvPT_PKS4_jjjS4_T0_
                                        ; -- End function
	.set _ZN2at6native32tensor_kernel_scan_innermost_dimIdSt10multipliesIdEEEvPT_PKS4_jjjS4_T0_.num_vgpr, 21
	.set _ZN2at6native32tensor_kernel_scan_innermost_dimIdSt10multipliesIdEEEvPT_PKS4_jjjS4_T0_.num_agpr, 0
	.set _ZN2at6native32tensor_kernel_scan_innermost_dimIdSt10multipliesIdEEEvPT_PKS4_jjjS4_T0_.numbered_sgpr, 35
	.set _ZN2at6native32tensor_kernel_scan_innermost_dimIdSt10multipliesIdEEEvPT_PKS4_jjjS4_T0_.num_named_barrier, 0
	.set _ZN2at6native32tensor_kernel_scan_innermost_dimIdSt10multipliesIdEEEvPT_PKS4_jjjS4_T0_.private_seg_size, 0
	.set _ZN2at6native32tensor_kernel_scan_innermost_dimIdSt10multipliesIdEEEvPT_PKS4_jjjS4_T0_.uses_vcc, 1
	.set _ZN2at6native32tensor_kernel_scan_innermost_dimIdSt10multipliesIdEEEvPT_PKS4_jjjS4_T0_.uses_flat_scratch, 0
	.set _ZN2at6native32tensor_kernel_scan_innermost_dimIdSt10multipliesIdEEEvPT_PKS4_jjjS4_T0_.has_dyn_sized_stack, 0
	.set _ZN2at6native32tensor_kernel_scan_innermost_dimIdSt10multipliesIdEEEvPT_PKS4_jjjS4_T0_.has_recursion, 0
	.set _ZN2at6native32tensor_kernel_scan_innermost_dimIdSt10multipliesIdEEEvPT_PKS4_jjjS4_T0_.has_indirect_call, 0
	.section	.AMDGPU.csdata,"",@progbits
; Kernel info:
; codeLenInByte = 1772
; TotalNumSgprs: 39
; NumVgprs: 21
; ScratchSize: 0
; MemoryBound: 0
; FloatMode: 240
; IeeeMode: 1
; LDSByteSize: 0 bytes/workgroup (compile time only)
; SGPRBlocks: 4
; VGPRBlocks: 5
; NumSGPRsForWavesPerEU: 39
; NumVGPRsForWavesPerEU: 21
; Occupancy: 10
; WaveLimiterHint : 0
; COMPUTE_PGM_RSRC2:SCRATCH_EN: 0
; COMPUTE_PGM_RSRC2:USER_SGPR: 6
; COMPUTE_PGM_RSRC2:TRAP_HANDLER: 0
; COMPUTE_PGM_RSRC2:TGID_X_EN: 1
; COMPUTE_PGM_RSRC2:TGID_Y_EN: 0
; COMPUTE_PGM_RSRC2:TGID_Z_EN: 0
; COMPUTE_PGM_RSRC2:TIDIG_COMP_CNT: 1
	.section	.text._ZN2at6native28tensor_kernel_scan_outer_dimIdjSt10multipliesIdEEEvPT_PKS4_jjjS4_T1_,"axG",@progbits,_ZN2at6native28tensor_kernel_scan_outer_dimIdjSt10multipliesIdEEEvPT_PKS4_jjjS4_T1_,comdat
	.protected	_ZN2at6native28tensor_kernel_scan_outer_dimIdjSt10multipliesIdEEEvPT_PKS4_jjjS4_T1_ ; -- Begin function _ZN2at6native28tensor_kernel_scan_outer_dimIdjSt10multipliesIdEEEvPT_PKS4_jjjS4_T1_
	.globl	_ZN2at6native28tensor_kernel_scan_outer_dimIdjSt10multipliesIdEEEvPT_PKS4_jjjS4_T1_
	.p2align	8
	.type	_ZN2at6native28tensor_kernel_scan_outer_dimIdjSt10multipliesIdEEEvPT_PKS4_jjjS4_T1_,@function
_ZN2at6native28tensor_kernel_scan_outer_dimIdjSt10multipliesIdEEEvPT_PKS4_jjjS4_T1_: ; @_ZN2at6native28tensor_kernel_scan_outer_dimIdjSt10multipliesIdEEEvPT_PKS4_jjjS4_T1_
; %bb.0:
	s_load_dwordx4 s[8:11], s[4:5], 0x10
	s_waitcnt lgkmcnt(0)
	s_cmp_ge_u32 s6, s8
	s_cbranch_scc1 .LBB52_9
; %bb.1:
	s_load_dword s11, s[4:5], 0x30
	s_load_dword s0, s[4:5], 0x3c
	s_load_dwordx4 s[12:15], s[4:5], 0x0
	s_load_dwordx2 s[16:17], s[4:5], 0x20
	s_add_u32 s18, s4, 48
	s_addc_u32 s19, s5, 0
	s_waitcnt lgkmcnt(0)
	s_and_b32 s30, s0, 0xffff
	s_cmp_lg_u32 s10, 0
	s_mul_i32 s7, s7, s30
	s_cselect_b64 s[2:3], -1, 0
	s_mul_i32 s4, s6, s10
	v_add_u32_e32 v4, s7, v0
	s_mov_b32 s21, 0
	s_mov_b32 s20, s9
	s_mul_i32 s4, s4, s9
	s_mul_i32 s7, s11, s10
	v_cndmask_b32_e64 v0, 0, 1, s[2:3]
	v_cmp_gt_u32_e64 s[0:1], s9, v4
	s_mul_i32 s7, s7, s9
	s_lshl_b64 s[22:23], s[20:21], 3
	v_cmp_ne_u32_e64 s[2:3], 1, v0
	v_mov_b32_e32 v1, 0
	s_mov_b32 s20, s4
	s_branch .LBB52_3
.LBB52_2:                               ;   in Loop: Header=BB52_3 Depth=1
	s_or_b64 exec, exec, s[24:25]
	s_add_i32 s6, s11, s6
	s_add_i32 s20, s20, s7
	s_cmp_ge_u32 s6, s8
	s_cbranch_scc1 .LBB52_9
.LBB52_3:                               ; =>This Loop Header: Depth=1
                                        ;     Child Loop BB52_6 Depth 2
                                        ;       Child Loop BB52_8 Depth 3
	s_and_saveexec_b64 s[24:25], s[0:1]
	s_cbranch_execz .LBB52_2
; %bb.4:                                ;   in Loop: Header=BB52_3 Depth=1
	s_load_dword s31, s[18:19], 0x4
	s_lshl_b64 s[26:27], s[20:21], 3
	s_mov_b64 s[28:29], 0
	v_mov_b32_e32 v0, v4
	s_waitcnt lgkmcnt(0)
	s_mul_i32 s31, s31, s30
	s_branch .LBB52_6
.LBB52_5:                               ;   in Loop: Header=BB52_6 Depth=2
	v_add_u32_e32 v0, s31, v0
	v_cmp_le_u32_e32 vcc, s9, v0
	s_or_b64 s[28:29], vcc, s[28:29]
	s_andn2_b64 exec, exec, s[28:29]
	s_cbranch_execz .LBB52_2
.LBB52_6:                               ;   Parent Loop BB52_3 Depth=1
                                        ; =>  This Loop Header: Depth=2
                                        ;       Child Loop BB52_8 Depth 3
	s_and_b64 vcc, exec, s[2:3]
	s_cbranch_vccnz .LBB52_5
; %bb.7:                                ;   in Loop: Header=BB52_6 Depth=2
	v_lshlrev_b64 v[2:3], 3, v[0:1]
	v_mov_b32_e32 v6, s27
	v_add_co_u32_e32 v5, vcc, s26, v2
	v_addc_co_u32_e32 v6, vcc, v6, v3, vcc
	v_mov_b32_e32 v2, s16
	v_mov_b32_e32 v3, s17
	s_mov_b32 s33, s10
.LBB52_8:                               ;   Parent Loop BB52_3 Depth=1
                                        ;     Parent Loop BB52_6 Depth=2
                                        ; =>    This Inner Loop Header: Depth=3
	v_mov_b32_e32 v8, s15
	v_add_co_u32_e32 v7, vcc, s14, v5
	v_addc_co_u32_e32 v8, vcc, v8, v6, vcc
	global_load_dwordx2 v[7:8], v[7:8], off
	v_mov_b32_e32 v10, s13
	v_add_co_u32_e32 v9, vcc, s12, v5
	s_add_i32 s33, s33, -1
	v_mov_b32_e32 v11, s23
	v_add_co_u32_e64 v5, s[4:5], s22, v5
	v_addc_co_u32_e32 v10, vcc, v10, v6, vcc
	v_addc_co_u32_e64 v6, vcc, v6, v11, s[4:5]
	s_cmp_eq_u32 s33, 0
	s_waitcnt vmcnt(0)
	v_mul_f64 v[2:3], v[2:3], v[7:8]
	global_store_dwordx2 v[9:10], v[2:3], off
	s_cbranch_scc0 .LBB52_8
	s_branch .LBB52_5
.LBB52_9:
	s_endpgm
	.section	.rodata,"a",@progbits
	.p2align	6, 0x0
	.amdhsa_kernel _ZN2at6native28tensor_kernel_scan_outer_dimIdjSt10multipliesIdEEEvPT_PKS4_jjjS4_T1_
		.amdhsa_group_segment_fixed_size 0
		.amdhsa_private_segment_fixed_size 0
		.amdhsa_kernarg_size 304
		.amdhsa_user_sgpr_count 6
		.amdhsa_user_sgpr_private_segment_buffer 1
		.amdhsa_user_sgpr_dispatch_ptr 0
		.amdhsa_user_sgpr_queue_ptr 0
		.amdhsa_user_sgpr_kernarg_segment_ptr 1
		.amdhsa_user_sgpr_dispatch_id 0
		.amdhsa_user_sgpr_flat_scratch_init 0
		.amdhsa_user_sgpr_private_segment_size 0
		.amdhsa_uses_dynamic_stack 0
		.amdhsa_system_sgpr_private_segment_wavefront_offset 0
		.amdhsa_system_sgpr_workgroup_id_x 1
		.amdhsa_system_sgpr_workgroup_id_y 1
		.amdhsa_system_sgpr_workgroup_id_z 0
		.amdhsa_system_sgpr_workgroup_info 0
		.amdhsa_system_vgpr_workitem_id 0
		.amdhsa_next_free_vgpr 12
		.amdhsa_next_free_sgpr 34
		.amdhsa_reserve_vcc 1
		.amdhsa_reserve_flat_scratch 0
		.amdhsa_float_round_mode_32 0
		.amdhsa_float_round_mode_16_64 0
		.amdhsa_float_denorm_mode_32 3
		.amdhsa_float_denorm_mode_16_64 3
		.amdhsa_dx10_clamp 1
		.amdhsa_ieee_mode 1
		.amdhsa_fp16_overflow 0
		.amdhsa_exception_fp_ieee_invalid_op 0
		.amdhsa_exception_fp_denorm_src 0
		.amdhsa_exception_fp_ieee_div_zero 0
		.amdhsa_exception_fp_ieee_overflow 0
		.amdhsa_exception_fp_ieee_underflow 0
		.amdhsa_exception_fp_ieee_inexact 0
		.amdhsa_exception_int_div_zero 0
	.end_amdhsa_kernel
	.section	.text._ZN2at6native28tensor_kernel_scan_outer_dimIdjSt10multipliesIdEEEvPT_PKS4_jjjS4_T1_,"axG",@progbits,_ZN2at6native28tensor_kernel_scan_outer_dimIdjSt10multipliesIdEEEvPT_PKS4_jjjS4_T1_,comdat
.Lfunc_end52:
	.size	_ZN2at6native28tensor_kernel_scan_outer_dimIdjSt10multipliesIdEEEvPT_PKS4_jjjS4_T1_, .Lfunc_end52-_ZN2at6native28tensor_kernel_scan_outer_dimIdjSt10multipliesIdEEEvPT_PKS4_jjjS4_T1_
                                        ; -- End function
	.set _ZN2at6native28tensor_kernel_scan_outer_dimIdjSt10multipliesIdEEEvPT_PKS4_jjjS4_T1_.num_vgpr, 12
	.set _ZN2at6native28tensor_kernel_scan_outer_dimIdjSt10multipliesIdEEEvPT_PKS4_jjjS4_T1_.num_agpr, 0
	.set _ZN2at6native28tensor_kernel_scan_outer_dimIdjSt10multipliesIdEEEvPT_PKS4_jjjS4_T1_.numbered_sgpr, 34
	.set _ZN2at6native28tensor_kernel_scan_outer_dimIdjSt10multipliesIdEEEvPT_PKS4_jjjS4_T1_.num_named_barrier, 0
	.set _ZN2at6native28tensor_kernel_scan_outer_dimIdjSt10multipliesIdEEEvPT_PKS4_jjjS4_T1_.private_seg_size, 0
	.set _ZN2at6native28tensor_kernel_scan_outer_dimIdjSt10multipliesIdEEEvPT_PKS4_jjjS4_T1_.uses_vcc, 1
	.set _ZN2at6native28tensor_kernel_scan_outer_dimIdjSt10multipliesIdEEEvPT_PKS4_jjjS4_T1_.uses_flat_scratch, 0
	.set _ZN2at6native28tensor_kernel_scan_outer_dimIdjSt10multipliesIdEEEvPT_PKS4_jjjS4_T1_.has_dyn_sized_stack, 0
	.set _ZN2at6native28tensor_kernel_scan_outer_dimIdjSt10multipliesIdEEEvPT_PKS4_jjjS4_T1_.has_recursion, 0
	.set _ZN2at6native28tensor_kernel_scan_outer_dimIdjSt10multipliesIdEEEvPT_PKS4_jjjS4_T1_.has_indirect_call, 0
	.section	.AMDGPU.csdata,"",@progbits
; Kernel info:
; codeLenInByte = 364
; TotalNumSgprs: 38
; NumVgprs: 12
; ScratchSize: 0
; MemoryBound: 0
; FloatMode: 240
; IeeeMode: 1
; LDSByteSize: 0 bytes/workgroup (compile time only)
; SGPRBlocks: 4
; VGPRBlocks: 2
; NumSGPRsForWavesPerEU: 38
; NumVGPRsForWavesPerEU: 12
; Occupancy: 10
; WaveLimiterHint : 0
; COMPUTE_PGM_RSRC2:SCRATCH_EN: 0
; COMPUTE_PGM_RSRC2:USER_SGPR: 6
; COMPUTE_PGM_RSRC2:TRAP_HANDLER: 0
; COMPUTE_PGM_RSRC2:TGID_X_EN: 1
; COMPUTE_PGM_RSRC2:TGID_Y_EN: 1
; COMPUTE_PGM_RSRC2:TGID_Z_EN: 0
; COMPUTE_PGM_RSRC2:TIDIG_COMP_CNT: 0
	.section	.text._ZN2at6native28tensor_kernel_scan_outer_dimIdmSt10multipliesIdEEEvPT_PKS4_jjjS4_T1_,"axG",@progbits,_ZN2at6native28tensor_kernel_scan_outer_dimIdmSt10multipliesIdEEEvPT_PKS4_jjjS4_T1_,comdat
	.protected	_ZN2at6native28tensor_kernel_scan_outer_dimIdmSt10multipliesIdEEEvPT_PKS4_jjjS4_T1_ ; -- Begin function _ZN2at6native28tensor_kernel_scan_outer_dimIdmSt10multipliesIdEEEvPT_PKS4_jjjS4_T1_
	.globl	_ZN2at6native28tensor_kernel_scan_outer_dimIdmSt10multipliesIdEEEvPT_PKS4_jjjS4_T1_
	.p2align	8
	.type	_ZN2at6native28tensor_kernel_scan_outer_dimIdmSt10multipliesIdEEEvPT_PKS4_jjjS4_T1_,@function
_ZN2at6native28tensor_kernel_scan_outer_dimIdmSt10multipliesIdEEEvPT_PKS4_jjjS4_T1_: ; @_ZN2at6native28tensor_kernel_scan_outer_dimIdmSt10multipliesIdEEEvPT_PKS4_jjjS4_T1_
; %bb.0:
	s_load_dwordx4 s[8:11], s[4:5], 0x10
	s_waitcnt lgkmcnt(0)
	s_cmp_ge_u32 s6, s8
	s_cbranch_scc1 .LBB53_9
; %bb.1:
	s_load_dword s11, s[4:5], 0x30
	s_load_dword s0, s[4:5], 0x3c
	s_load_dwordx4 s[12:15], s[4:5], 0x0
	s_load_dwordx2 s[16:17], s[4:5], 0x20
	s_add_u32 s18, s4, 48
	s_addc_u32 s19, s5, 0
	s_waitcnt lgkmcnt(0)
	s_and_b32 s28, s0, 0xffff
	s_cmp_lg_u32 s10, 0
	s_mul_i32 s7, s7, s28
	s_cselect_b64 s[4:5], -1, 0
	v_add_u32_e32 v4, s7, v0
	s_mov_b32 s3, 0
	s_mov_b32 s2, s9
	s_mul_hi_u32 s21, s10, s9
	s_mul_i32 s20, s10, s9
	v_cndmask_b32_e64 v0, 0, 1, s[4:5]
	v_cmp_gt_u32_e64 s[0:1], s9, v4
	s_lshl_b64 s[20:21], s[20:21], 3
	s_lshl_b64 s[22:23], s[2:3], 3
	v_cmp_ne_u32_e64 s[2:3], 1, v0
	v_mov_b32_e32 v1, 0
	s_branch .LBB53_3
.LBB53_2:                               ;   in Loop: Header=BB53_3 Depth=1
	s_or_b64 exec, exec, s[24:25]
	s_add_i32 s6, s6, s11
	s_cmp_ge_u32 s6, s8
	s_cbranch_scc1 .LBB53_9
.LBB53_3:                               ; =>This Loop Header: Depth=1
                                        ;     Child Loop BB53_6 Depth 2
                                        ;       Child Loop BB53_8 Depth 3
	s_and_saveexec_b64 s[24:25], s[0:1]
	s_cbranch_execz .LBB53_2
; %bb.4:                                ;   in Loop: Header=BB53_3 Depth=1
	s_load_dword s30, s[18:19], 0x4
	s_mul_i32 s4, s21, s6
	s_mul_hi_u32 s5, s20, s6
	s_mul_i32 s7, s20, s6
	s_add_i32 s29, s5, s4
	s_waitcnt lgkmcnt(0)
	s_mul_i32 s30, s30, s28
	s_mov_b64 s[26:27], 0
	v_mov_b32_e32 v0, v4
	s_branch .LBB53_6
.LBB53_5:                               ;   in Loop: Header=BB53_6 Depth=2
	v_add_u32_e32 v0, s30, v0
	v_cmp_le_u32_e32 vcc, s9, v0
	s_or_b64 s[26:27], vcc, s[26:27]
	s_andn2_b64 exec, exec, s[26:27]
	s_cbranch_execz .LBB53_2
.LBB53_6:                               ;   Parent Loop BB53_3 Depth=1
                                        ; =>  This Loop Header: Depth=2
                                        ;       Child Loop BB53_8 Depth 3
	s_and_b64 vcc, exec, s[2:3]
	s_cbranch_vccnz .LBB53_5
; %bb.7:                                ;   in Loop: Header=BB53_6 Depth=2
	v_lshlrev_b64 v[2:3], 3, v[0:1]
	v_mov_b32_e32 v6, s29
	v_add_co_u32_e32 v5, vcc, s7, v2
	v_addc_co_u32_e32 v6, vcc, v6, v3, vcc
	v_mov_b32_e32 v2, s16
	v_mov_b32_e32 v3, s17
	s_mov_b32 s31, s10
.LBB53_8:                               ;   Parent Loop BB53_3 Depth=1
                                        ;     Parent Loop BB53_6 Depth=2
                                        ; =>    This Inner Loop Header: Depth=3
	v_mov_b32_e32 v8, s15
	v_add_co_u32_e32 v7, vcc, s14, v5
	v_addc_co_u32_e32 v8, vcc, v8, v6, vcc
	global_load_dwordx2 v[7:8], v[7:8], off
	v_mov_b32_e32 v10, s13
	v_add_co_u32_e32 v9, vcc, s12, v5
	s_add_i32 s31, s31, -1
	v_mov_b32_e32 v11, s23
	v_add_co_u32_e64 v5, s[4:5], s22, v5
	v_addc_co_u32_e32 v10, vcc, v10, v6, vcc
	v_addc_co_u32_e64 v6, vcc, v6, v11, s[4:5]
	s_cmp_eq_u32 s31, 0
	s_waitcnt vmcnt(0)
	v_mul_f64 v[2:3], v[2:3], v[7:8]
	global_store_dwordx2 v[9:10], v[2:3], off
	s_cbranch_scc0 .LBB53_8
	s_branch .LBB53_5
.LBB53_9:
	s_endpgm
	.section	.rodata,"a",@progbits
	.p2align	6, 0x0
	.amdhsa_kernel _ZN2at6native28tensor_kernel_scan_outer_dimIdmSt10multipliesIdEEEvPT_PKS4_jjjS4_T1_
		.amdhsa_group_segment_fixed_size 0
		.amdhsa_private_segment_fixed_size 0
		.amdhsa_kernarg_size 304
		.amdhsa_user_sgpr_count 6
		.amdhsa_user_sgpr_private_segment_buffer 1
		.amdhsa_user_sgpr_dispatch_ptr 0
		.amdhsa_user_sgpr_queue_ptr 0
		.amdhsa_user_sgpr_kernarg_segment_ptr 1
		.amdhsa_user_sgpr_dispatch_id 0
		.amdhsa_user_sgpr_flat_scratch_init 0
		.amdhsa_user_sgpr_private_segment_size 0
		.amdhsa_uses_dynamic_stack 0
		.amdhsa_system_sgpr_private_segment_wavefront_offset 0
		.amdhsa_system_sgpr_workgroup_id_x 1
		.amdhsa_system_sgpr_workgroup_id_y 1
		.amdhsa_system_sgpr_workgroup_id_z 0
		.amdhsa_system_sgpr_workgroup_info 0
		.amdhsa_system_vgpr_workitem_id 0
		.amdhsa_next_free_vgpr 12
		.amdhsa_next_free_sgpr 32
		.amdhsa_reserve_vcc 1
		.amdhsa_reserve_flat_scratch 0
		.amdhsa_float_round_mode_32 0
		.amdhsa_float_round_mode_16_64 0
		.amdhsa_float_denorm_mode_32 3
		.amdhsa_float_denorm_mode_16_64 3
		.amdhsa_dx10_clamp 1
		.amdhsa_ieee_mode 1
		.amdhsa_fp16_overflow 0
		.amdhsa_exception_fp_ieee_invalid_op 0
		.amdhsa_exception_fp_denorm_src 0
		.amdhsa_exception_fp_ieee_div_zero 0
		.amdhsa_exception_fp_ieee_overflow 0
		.amdhsa_exception_fp_ieee_underflow 0
		.amdhsa_exception_fp_ieee_inexact 0
		.amdhsa_exception_int_div_zero 0
	.end_amdhsa_kernel
	.section	.text._ZN2at6native28tensor_kernel_scan_outer_dimIdmSt10multipliesIdEEEvPT_PKS4_jjjS4_T1_,"axG",@progbits,_ZN2at6native28tensor_kernel_scan_outer_dimIdmSt10multipliesIdEEEvPT_PKS4_jjjS4_T1_,comdat
.Lfunc_end53:
	.size	_ZN2at6native28tensor_kernel_scan_outer_dimIdmSt10multipliesIdEEEvPT_PKS4_jjjS4_T1_, .Lfunc_end53-_ZN2at6native28tensor_kernel_scan_outer_dimIdmSt10multipliesIdEEEvPT_PKS4_jjjS4_T1_
                                        ; -- End function
	.set _ZN2at6native28tensor_kernel_scan_outer_dimIdmSt10multipliesIdEEEvPT_PKS4_jjjS4_T1_.num_vgpr, 12
	.set _ZN2at6native28tensor_kernel_scan_outer_dimIdmSt10multipliesIdEEEvPT_PKS4_jjjS4_T1_.num_agpr, 0
	.set _ZN2at6native28tensor_kernel_scan_outer_dimIdmSt10multipliesIdEEEvPT_PKS4_jjjS4_T1_.numbered_sgpr, 32
	.set _ZN2at6native28tensor_kernel_scan_outer_dimIdmSt10multipliesIdEEEvPT_PKS4_jjjS4_T1_.num_named_barrier, 0
	.set _ZN2at6native28tensor_kernel_scan_outer_dimIdmSt10multipliesIdEEEvPT_PKS4_jjjS4_T1_.private_seg_size, 0
	.set _ZN2at6native28tensor_kernel_scan_outer_dimIdmSt10multipliesIdEEEvPT_PKS4_jjjS4_T1_.uses_vcc, 1
	.set _ZN2at6native28tensor_kernel_scan_outer_dimIdmSt10multipliesIdEEEvPT_PKS4_jjjS4_T1_.uses_flat_scratch, 0
	.set _ZN2at6native28tensor_kernel_scan_outer_dimIdmSt10multipliesIdEEEvPT_PKS4_jjjS4_T1_.has_dyn_sized_stack, 0
	.set _ZN2at6native28tensor_kernel_scan_outer_dimIdmSt10multipliesIdEEEvPT_PKS4_jjjS4_T1_.has_recursion, 0
	.set _ZN2at6native28tensor_kernel_scan_outer_dimIdmSt10multipliesIdEEEvPT_PKS4_jjjS4_T1_.has_indirect_call, 0
	.section	.AMDGPU.csdata,"",@progbits
; Kernel info:
; codeLenInByte = 364
; TotalNumSgprs: 36
; NumVgprs: 12
; ScratchSize: 0
; MemoryBound: 0
; FloatMode: 240
; IeeeMode: 1
; LDSByteSize: 0 bytes/workgroup (compile time only)
; SGPRBlocks: 4
; VGPRBlocks: 2
; NumSGPRsForWavesPerEU: 36
; NumVGPRsForWavesPerEU: 12
; Occupancy: 10
; WaveLimiterHint : 0
; COMPUTE_PGM_RSRC2:SCRATCH_EN: 0
; COMPUTE_PGM_RSRC2:USER_SGPR: 6
; COMPUTE_PGM_RSRC2:TRAP_HANDLER: 0
; COMPUTE_PGM_RSRC2:TGID_X_EN: 1
; COMPUTE_PGM_RSRC2:TGID_Y_EN: 1
; COMPUTE_PGM_RSRC2:TGID_Z_EN: 0
; COMPUTE_PGM_RSRC2:TIDIG_COMP_CNT: 0
	.section	.text._ZN7rocprim17ROCPRIM_304000_NS6detail31init_lookback_scan_state_kernelINS1_19lookback_scan_stateIfLb1ELb1EEEEEvT_jjPNS5_10value_typeE,"axG",@progbits,_ZN7rocprim17ROCPRIM_304000_NS6detail31init_lookback_scan_state_kernelINS1_19lookback_scan_stateIfLb1ELb1EEEEEvT_jjPNS5_10value_typeE,comdat
	.protected	_ZN7rocprim17ROCPRIM_304000_NS6detail31init_lookback_scan_state_kernelINS1_19lookback_scan_stateIfLb1ELb1EEEEEvT_jjPNS5_10value_typeE ; -- Begin function _ZN7rocprim17ROCPRIM_304000_NS6detail31init_lookback_scan_state_kernelINS1_19lookback_scan_stateIfLb1ELb1EEEEEvT_jjPNS5_10value_typeE
	.globl	_ZN7rocprim17ROCPRIM_304000_NS6detail31init_lookback_scan_state_kernelINS1_19lookback_scan_stateIfLb1ELb1EEEEEvT_jjPNS5_10value_typeE
	.p2align	8
	.type	_ZN7rocprim17ROCPRIM_304000_NS6detail31init_lookback_scan_state_kernelINS1_19lookback_scan_stateIfLb1ELb1EEEEEvT_jjPNS5_10value_typeE,@function
_ZN7rocprim17ROCPRIM_304000_NS6detail31init_lookback_scan_state_kernelINS1_19lookback_scan_stateIfLb1ELb1EEEEEvT_jjPNS5_10value_typeE: ; @_ZN7rocprim17ROCPRIM_304000_NS6detail31init_lookback_scan_state_kernelINS1_19lookback_scan_stateIfLb1ELb1EEEEEvT_jjPNS5_10value_typeE
; %bb.0:
	s_load_dword s7, s[4:5], 0x24
	s_load_dwordx2 s[8:9], s[4:5], 0x10
	s_load_dwordx4 s[0:3], s[4:5], 0x0
	s_waitcnt lgkmcnt(0)
	s_and_b32 s4, s7, 0xffff
	s_mul_i32 s6, s6, s4
	s_cmp_eq_u64 s[8:9], 0
	v_add_u32_e32 v0, s6, v0
	s_cbranch_scc1 .LBB54_9
; %bb.1:
	s_cmp_lt_u32 s3, s2
	s_cselect_b32 s4, s3, 0
	s_mov_b32 s7, 0
	v_cmp_eq_u32_e32 vcc, s4, v0
	s_and_saveexec_b64 s[4:5], vcc
	s_cbranch_execz .LBB54_8
; %bb.2:
	s_add_i32 s6, s3, 64
	s_lshl_b64 s[6:7], s[6:7], 3
	s_add_u32 s6, s0, s6
	s_addc_u32 s7, s1, s7
	v_mov_b32_e32 v1, 0
	global_load_dwordx2 v[3:4], v1, s[6:7] glc
	s_waitcnt vmcnt(0)
	v_and_b32_e32 v2, 0xff, v4
	v_cmp_ne_u64_e32 vcc, 0, v[1:2]
	s_cbranch_vccnz .LBB54_7
; %bb.3:
	s_mov_b32 s3, 1
.LBB54_4:                               ; =>This Loop Header: Depth=1
                                        ;     Child Loop BB54_5 Depth 2
	s_mov_b32 s10, s3
.LBB54_5:                               ;   Parent Loop BB54_4 Depth=1
                                        ; =>  This Inner Loop Header: Depth=2
	s_add_i32 s10, s10, -1
	s_cmp_eq_u32 s10, 0
	s_sleep 1
	s_cbranch_scc0 .LBB54_5
; %bb.6:                                ;   in Loop: Header=BB54_4 Depth=1
	global_load_dwordx2 v[3:4], v1, s[6:7] glc
	s_cmp_lt_u32 s3, 32
	s_cselect_b64 s[10:11], -1, 0
	s_cmp_lg_u64 s[10:11], 0
	s_addc_u32 s3, s3, 0
	s_waitcnt vmcnt(0)
	v_and_b32_e32 v2, 0xff, v4
	v_cmp_ne_u64_e32 vcc, 0, v[1:2]
	s_cbranch_vccz .LBB54_4
.LBB54_7:
	v_mov_b32_e32 v1, 0
	global_store_dword v1, v3, s[8:9]
.LBB54_8:
	s_or_b64 exec, exec, s[4:5]
.LBB54_9:
	v_cmp_gt_u32_e32 vcc, s2, v0
	s_and_saveexec_b64 s[2:3], vcc
	s_cbranch_execnz .LBB54_12
; %bb.10:
	s_or_b64 exec, exec, s[2:3]
	v_cmp_gt_u32_e32 vcc, 64, v0
	s_and_saveexec_b64 s[2:3], vcc
	s_cbranch_execnz .LBB54_13
.LBB54_11:
	s_endpgm
.LBB54_12:
	v_add_u32_e32 v1, 64, v0
	v_mov_b32_e32 v2, 0
	v_lshlrev_b64 v[3:4], 3, v[1:2]
	v_mov_b32_e32 v1, s1
	v_add_co_u32_e32 v3, vcc, s0, v3
	v_addc_co_u32_e32 v4, vcc, v1, v4, vcc
	v_mov_b32_e32 v1, v2
	global_store_dwordx2 v[3:4], v[1:2], off
	s_or_b64 exec, exec, s[2:3]
	v_cmp_gt_u32_e32 vcc, 64, v0
	s_and_saveexec_b64 s[2:3], vcc
	s_cbranch_execz .LBB54_11
.LBB54_13:
	v_mov_b32_e32 v1, 0
	v_lshlrev_b64 v[2:3], 3, v[0:1]
	v_mov_b32_e32 v0, s1
	v_add_co_u32_e32 v2, vcc, s0, v2
	v_addc_co_u32_e32 v3, vcc, v0, v3, vcc
	v_mov_b32_e32 v5, 0xff
	v_mov_b32_e32 v4, v1
	global_store_dwordx2 v[2:3], v[4:5], off
	s_endpgm
	.section	.rodata,"a",@progbits
	.p2align	6, 0x0
	.amdhsa_kernel _ZN7rocprim17ROCPRIM_304000_NS6detail31init_lookback_scan_state_kernelINS1_19lookback_scan_stateIfLb1ELb1EEEEEvT_jjPNS5_10value_typeE
		.amdhsa_group_segment_fixed_size 0
		.amdhsa_private_segment_fixed_size 0
		.amdhsa_kernarg_size 280
		.amdhsa_user_sgpr_count 6
		.amdhsa_user_sgpr_private_segment_buffer 1
		.amdhsa_user_sgpr_dispatch_ptr 0
		.amdhsa_user_sgpr_queue_ptr 0
		.amdhsa_user_sgpr_kernarg_segment_ptr 1
		.amdhsa_user_sgpr_dispatch_id 0
		.amdhsa_user_sgpr_flat_scratch_init 0
		.amdhsa_user_sgpr_private_segment_size 0
		.amdhsa_uses_dynamic_stack 0
		.amdhsa_system_sgpr_private_segment_wavefront_offset 0
		.amdhsa_system_sgpr_workgroup_id_x 1
		.amdhsa_system_sgpr_workgroup_id_y 0
		.amdhsa_system_sgpr_workgroup_id_z 0
		.amdhsa_system_sgpr_workgroup_info 0
		.amdhsa_system_vgpr_workitem_id 0
		.amdhsa_next_free_vgpr 6
		.amdhsa_next_free_sgpr 12
		.amdhsa_reserve_vcc 1
		.amdhsa_reserve_flat_scratch 0
		.amdhsa_float_round_mode_32 0
		.amdhsa_float_round_mode_16_64 0
		.amdhsa_float_denorm_mode_32 3
		.amdhsa_float_denorm_mode_16_64 3
		.amdhsa_dx10_clamp 1
		.amdhsa_ieee_mode 1
		.amdhsa_fp16_overflow 0
		.amdhsa_exception_fp_ieee_invalid_op 0
		.amdhsa_exception_fp_denorm_src 0
		.amdhsa_exception_fp_ieee_div_zero 0
		.amdhsa_exception_fp_ieee_overflow 0
		.amdhsa_exception_fp_ieee_underflow 0
		.amdhsa_exception_fp_ieee_inexact 0
		.amdhsa_exception_int_div_zero 0
	.end_amdhsa_kernel
	.section	.text._ZN7rocprim17ROCPRIM_304000_NS6detail31init_lookback_scan_state_kernelINS1_19lookback_scan_stateIfLb1ELb1EEEEEvT_jjPNS5_10value_typeE,"axG",@progbits,_ZN7rocprim17ROCPRIM_304000_NS6detail31init_lookback_scan_state_kernelINS1_19lookback_scan_stateIfLb1ELb1EEEEEvT_jjPNS5_10value_typeE,comdat
.Lfunc_end54:
	.size	_ZN7rocprim17ROCPRIM_304000_NS6detail31init_lookback_scan_state_kernelINS1_19lookback_scan_stateIfLb1ELb1EEEEEvT_jjPNS5_10value_typeE, .Lfunc_end54-_ZN7rocprim17ROCPRIM_304000_NS6detail31init_lookback_scan_state_kernelINS1_19lookback_scan_stateIfLb1ELb1EEEEEvT_jjPNS5_10value_typeE
                                        ; -- End function
	.set _ZN7rocprim17ROCPRIM_304000_NS6detail31init_lookback_scan_state_kernelINS1_19lookback_scan_stateIfLb1ELb1EEEEEvT_jjPNS5_10value_typeE.num_vgpr, 6
	.set _ZN7rocprim17ROCPRIM_304000_NS6detail31init_lookback_scan_state_kernelINS1_19lookback_scan_stateIfLb1ELb1EEEEEvT_jjPNS5_10value_typeE.num_agpr, 0
	.set _ZN7rocprim17ROCPRIM_304000_NS6detail31init_lookback_scan_state_kernelINS1_19lookback_scan_stateIfLb1ELb1EEEEEvT_jjPNS5_10value_typeE.numbered_sgpr, 12
	.set _ZN7rocprim17ROCPRIM_304000_NS6detail31init_lookback_scan_state_kernelINS1_19lookback_scan_stateIfLb1ELb1EEEEEvT_jjPNS5_10value_typeE.num_named_barrier, 0
	.set _ZN7rocprim17ROCPRIM_304000_NS6detail31init_lookback_scan_state_kernelINS1_19lookback_scan_stateIfLb1ELb1EEEEEvT_jjPNS5_10value_typeE.private_seg_size, 0
	.set _ZN7rocprim17ROCPRIM_304000_NS6detail31init_lookback_scan_state_kernelINS1_19lookback_scan_stateIfLb1ELb1EEEEEvT_jjPNS5_10value_typeE.uses_vcc, 1
	.set _ZN7rocprim17ROCPRIM_304000_NS6detail31init_lookback_scan_state_kernelINS1_19lookback_scan_stateIfLb1ELb1EEEEEvT_jjPNS5_10value_typeE.uses_flat_scratch, 0
	.set _ZN7rocprim17ROCPRIM_304000_NS6detail31init_lookback_scan_state_kernelINS1_19lookback_scan_stateIfLb1ELb1EEEEEvT_jjPNS5_10value_typeE.has_dyn_sized_stack, 0
	.set _ZN7rocprim17ROCPRIM_304000_NS6detail31init_lookback_scan_state_kernelINS1_19lookback_scan_stateIfLb1ELb1EEEEEvT_jjPNS5_10value_typeE.has_recursion, 0
	.set _ZN7rocprim17ROCPRIM_304000_NS6detail31init_lookback_scan_state_kernelINS1_19lookback_scan_stateIfLb1ELb1EEEEEvT_jjPNS5_10value_typeE.has_indirect_call, 0
	.section	.AMDGPU.csdata,"",@progbits
; Kernel info:
; codeLenInByte = 344
; TotalNumSgprs: 16
; NumVgprs: 6
; ScratchSize: 0
; MemoryBound: 0
; FloatMode: 240
; IeeeMode: 1
; LDSByteSize: 0 bytes/workgroup (compile time only)
; SGPRBlocks: 1
; VGPRBlocks: 1
; NumSGPRsForWavesPerEU: 16
; NumVGPRsForWavesPerEU: 6
; Occupancy: 10
; WaveLimiterHint : 0
; COMPUTE_PGM_RSRC2:SCRATCH_EN: 0
; COMPUTE_PGM_RSRC2:USER_SGPR: 6
; COMPUTE_PGM_RSRC2:TRAP_HANDLER: 0
; COMPUTE_PGM_RSRC2:TGID_X_EN: 1
; COMPUTE_PGM_RSRC2:TGID_Y_EN: 0
; COMPUTE_PGM_RSRC2:TGID_Z_EN: 0
; COMPUTE_PGM_RSRC2:TIDIG_COMP_CNT: 0
	.section	.text._ZN7rocprim17ROCPRIM_304000_NS6detail31init_lookback_scan_state_kernelINS1_19lookback_scan_stateIfLb0ELb1EEEEEvT_jjPNS5_10value_typeE,"axG",@progbits,_ZN7rocprim17ROCPRIM_304000_NS6detail31init_lookback_scan_state_kernelINS1_19lookback_scan_stateIfLb0ELb1EEEEEvT_jjPNS5_10value_typeE,comdat
	.protected	_ZN7rocprim17ROCPRIM_304000_NS6detail31init_lookback_scan_state_kernelINS1_19lookback_scan_stateIfLb0ELb1EEEEEvT_jjPNS5_10value_typeE ; -- Begin function _ZN7rocprim17ROCPRIM_304000_NS6detail31init_lookback_scan_state_kernelINS1_19lookback_scan_stateIfLb0ELb1EEEEEvT_jjPNS5_10value_typeE
	.globl	_ZN7rocprim17ROCPRIM_304000_NS6detail31init_lookback_scan_state_kernelINS1_19lookback_scan_stateIfLb0ELb1EEEEEvT_jjPNS5_10value_typeE
	.p2align	8
	.type	_ZN7rocprim17ROCPRIM_304000_NS6detail31init_lookback_scan_state_kernelINS1_19lookback_scan_stateIfLb0ELb1EEEEEvT_jjPNS5_10value_typeE,@function
_ZN7rocprim17ROCPRIM_304000_NS6detail31init_lookback_scan_state_kernelINS1_19lookback_scan_stateIfLb0ELb1EEEEEvT_jjPNS5_10value_typeE: ; @_ZN7rocprim17ROCPRIM_304000_NS6detail31init_lookback_scan_state_kernelINS1_19lookback_scan_stateIfLb0ELb1EEEEEvT_jjPNS5_10value_typeE
; %bb.0:
	s_load_dword s7, s[4:5], 0x24
	s_load_dwordx2 s[8:9], s[4:5], 0x10
	s_load_dwordx4 s[0:3], s[4:5], 0x0
	s_waitcnt lgkmcnt(0)
	s_and_b32 s4, s7, 0xffff
	s_mul_i32 s6, s6, s4
	s_cmp_eq_u64 s[8:9], 0
	v_add_u32_e32 v0, s6, v0
	s_cbranch_scc1 .LBB55_6
; %bb.1:
	s_cmp_lt_u32 s3, s2
	s_cselect_b32 s4, s3, 0
	s_mov_b32 s7, 0
	v_cmp_eq_u32_e32 vcc, s4, v0
	s_and_saveexec_b64 s[4:5], vcc
	s_cbranch_execz .LBB55_5
; %bb.2:
	s_add_i32 s6, s3, 64
	s_lshl_b64 s[6:7], s[6:7], 3
	s_add_u32 s6, s0, s6
	s_addc_u32 s7, s1, s7
	v_mov_b32_e32 v3, 0
	global_load_dwordx2 v[1:2], v3, s[6:7] glc
	s_waitcnt vmcnt(0)
	v_and_b32_e32 v4, 0xff, v2
	v_cmp_ne_u64_e32 vcc, 0, v[3:4]
	s_cbranch_vccnz .LBB55_4
.LBB55_3:                               ; =>This Inner Loop Header: Depth=1
	global_load_dwordx2 v[1:2], v3, s[6:7] glc
	s_waitcnt vmcnt(0)
	v_and_b32_e32 v4, 0xff, v2
	v_cmp_eq_u64_e32 vcc, 0, v[3:4]
	s_cbranch_vccnz .LBB55_3
.LBB55_4:
	v_mov_b32_e32 v2, 0
	global_store_dword v2, v1, s[8:9]
.LBB55_5:
	s_or_b64 exec, exec, s[4:5]
.LBB55_6:
	v_cmp_gt_u32_e32 vcc, s2, v0
	s_and_saveexec_b64 s[2:3], vcc
	s_cbranch_execnz .LBB55_9
; %bb.7:
	s_or_b64 exec, exec, s[2:3]
	v_cmp_gt_u32_e32 vcc, 64, v0
	s_and_saveexec_b64 s[2:3], vcc
	s_cbranch_execnz .LBB55_10
.LBB55_8:
	s_endpgm
.LBB55_9:
	v_add_u32_e32 v1, 64, v0
	v_mov_b32_e32 v2, 0
	v_lshlrev_b64 v[3:4], 3, v[1:2]
	v_mov_b32_e32 v1, s1
	v_add_co_u32_e32 v3, vcc, s0, v3
	v_addc_co_u32_e32 v4, vcc, v1, v4, vcc
	v_mov_b32_e32 v1, v2
	global_store_dwordx2 v[3:4], v[1:2], off
	s_or_b64 exec, exec, s[2:3]
	v_cmp_gt_u32_e32 vcc, 64, v0
	s_and_saveexec_b64 s[2:3], vcc
	s_cbranch_execz .LBB55_8
.LBB55_10:
	v_mov_b32_e32 v1, 0
	v_lshlrev_b64 v[2:3], 3, v[0:1]
	v_mov_b32_e32 v0, s1
	v_add_co_u32_e32 v2, vcc, s0, v2
	v_addc_co_u32_e32 v3, vcc, v0, v3, vcc
	v_mov_b32_e32 v5, 0xff
	v_mov_b32_e32 v4, v1
	global_store_dwordx2 v[2:3], v[4:5], off
	s_endpgm
	.section	.rodata,"a",@progbits
	.p2align	6, 0x0
	.amdhsa_kernel _ZN7rocprim17ROCPRIM_304000_NS6detail31init_lookback_scan_state_kernelINS1_19lookback_scan_stateIfLb0ELb1EEEEEvT_jjPNS5_10value_typeE
		.amdhsa_group_segment_fixed_size 0
		.amdhsa_private_segment_fixed_size 0
		.amdhsa_kernarg_size 280
		.amdhsa_user_sgpr_count 6
		.amdhsa_user_sgpr_private_segment_buffer 1
		.amdhsa_user_sgpr_dispatch_ptr 0
		.amdhsa_user_sgpr_queue_ptr 0
		.amdhsa_user_sgpr_kernarg_segment_ptr 1
		.amdhsa_user_sgpr_dispatch_id 0
		.amdhsa_user_sgpr_flat_scratch_init 0
		.amdhsa_user_sgpr_private_segment_size 0
		.amdhsa_uses_dynamic_stack 0
		.amdhsa_system_sgpr_private_segment_wavefront_offset 0
		.amdhsa_system_sgpr_workgroup_id_x 1
		.amdhsa_system_sgpr_workgroup_id_y 0
		.amdhsa_system_sgpr_workgroup_id_z 0
		.amdhsa_system_sgpr_workgroup_info 0
		.amdhsa_system_vgpr_workitem_id 0
		.amdhsa_next_free_vgpr 6
		.amdhsa_next_free_sgpr 10
		.amdhsa_reserve_vcc 1
		.amdhsa_reserve_flat_scratch 0
		.amdhsa_float_round_mode_32 0
		.amdhsa_float_round_mode_16_64 0
		.amdhsa_float_denorm_mode_32 3
		.amdhsa_float_denorm_mode_16_64 3
		.amdhsa_dx10_clamp 1
		.amdhsa_ieee_mode 1
		.amdhsa_fp16_overflow 0
		.amdhsa_exception_fp_ieee_invalid_op 0
		.amdhsa_exception_fp_denorm_src 0
		.amdhsa_exception_fp_ieee_div_zero 0
		.amdhsa_exception_fp_ieee_overflow 0
		.amdhsa_exception_fp_ieee_underflow 0
		.amdhsa_exception_fp_ieee_inexact 0
		.amdhsa_exception_int_div_zero 0
	.end_amdhsa_kernel
	.section	.text._ZN7rocprim17ROCPRIM_304000_NS6detail31init_lookback_scan_state_kernelINS1_19lookback_scan_stateIfLb0ELb1EEEEEvT_jjPNS5_10value_typeE,"axG",@progbits,_ZN7rocprim17ROCPRIM_304000_NS6detail31init_lookback_scan_state_kernelINS1_19lookback_scan_stateIfLb0ELb1EEEEEvT_jjPNS5_10value_typeE,comdat
.Lfunc_end55:
	.size	_ZN7rocprim17ROCPRIM_304000_NS6detail31init_lookback_scan_state_kernelINS1_19lookback_scan_stateIfLb0ELb1EEEEEvT_jjPNS5_10value_typeE, .Lfunc_end55-_ZN7rocprim17ROCPRIM_304000_NS6detail31init_lookback_scan_state_kernelINS1_19lookback_scan_stateIfLb0ELb1EEEEEvT_jjPNS5_10value_typeE
                                        ; -- End function
	.set _ZN7rocprim17ROCPRIM_304000_NS6detail31init_lookback_scan_state_kernelINS1_19lookback_scan_stateIfLb0ELb1EEEEEvT_jjPNS5_10value_typeE.num_vgpr, 6
	.set _ZN7rocprim17ROCPRIM_304000_NS6detail31init_lookback_scan_state_kernelINS1_19lookback_scan_stateIfLb0ELb1EEEEEvT_jjPNS5_10value_typeE.num_agpr, 0
	.set _ZN7rocprim17ROCPRIM_304000_NS6detail31init_lookback_scan_state_kernelINS1_19lookback_scan_stateIfLb0ELb1EEEEEvT_jjPNS5_10value_typeE.numbered_sgpr, 10
	.set _ZN7rocprim17ROCPRIM_304000_NS6detail31init_lookback_scan_state_kernelINS1_19lookback_scan_stateIfLb0ELb1EEEEEvT_jjPNS5_10value_typeE.num_named_barrier, 0
	.set _ZN7rocprim17ROCPRIM_304000_NS6detail31init_lookback_scan_state_kernelINS1_19lookback_scan_stateIfLb0ELb1EEEEEvT_jjPNS5_10value_typeE.private_seg_size, 0
	.set _ZN7rocprim17ROCPRIM_304000_NS6detail31init_lookback_scan_state_kernelINS1_19lookback_scan_stateIfLb0ELb1EEEEEvT_jjPNS5_10value_typeE.uses_vcc, 1
	.set _ZN7rocprim17ROCPRIM_304000_NS6detail31init_lookback_scan_state_kernelINS1_19lookback_scan_stateIfLb0ELb1EEEEEvT_jjPNS5_10value_typeE.uses_flat_scratch, 0
	.set _ZN7rocprim17ROCPRIM_304000_NS6detail31init_lookback_scan_state_kernelINS1_19lookback_scan_stateIfLb0ELb1EEEEEvT_jjPNS5_10value_typeE.has_dyn_sized_stack, 0
	.set _ZN7rocprim17ROCPRIM_304000_NS6detail31init_lookback_scan_state_kernelINS1_19lookback_scan_stateIfLb0ELb1EEEEEvT_jjPNS5_10value_typeE.has_recursion, 0
	.set _ZN7rocprim17ROCPRIM_304000_NS6detail31init_lookback_scan_state_kernelINS1_19lookback_scan_stateIfLb0ELb1EEEEEvT_jjPNS5_10value_typeE.has_indirect_call, 0
	.section	.AMDGPU.csdata,"",@progbits
; Kernel info:
; codeLenInByte = 304
; TotalNumSgprs: 14
; NumVgprs: 6
; ScratchSize: 0
; MemoryBound: 0
; FloatMode: 240
; IeeeMode: 1
; LDSByteSize: 0 bytes/workgroup (compile time only)
; SGPRBlocks: 1
; VGPRBlocks: 1
; NumSGPRsForWavesPerEU: 14
; NumVGPRsForWavesPerEU: 6
; Occupancy: 10
; WaveLimiterHint : 0
; COMPUTE_PGM_RSRC2:SCRATCH_EN: 0
; COMPUTE_PGM_RSRC2:USER_SGPR: 6
; COMPUTE_PGM_RSRC2:TRAP_HANDLER: 0
; COMPUTE_PGM_RSRC2:TGID_X_EN: 1
; COMPUTE_PGM_RSRC2:TGID_Y_EN: 0
; COMPUTE_PGM_RSRC2:TGID_Z_EN: 0
; COMPUTE_PGM_RSRC2:TIDIG_COMP_CNT: 0
	.section	.text._ZN7rocprim17ROCPRIM_304000_NS6detail20lookback_scan_kernelILNS1_25lookback_scan_determinismE0ELb0ENS1_19wrapped_scan_configINS0_14default_configEfEEPKfPfSt10multipliesIfEffNS1_19lookback_scan_stateIfLb1ELb1EEEEEvT2_T3_mT5_T4_T7_jPT6_SK_bb,"axG",@progbits,_ZN7rocprim17ROCPRIM_304000_NS6detail20lookback_scan_kernelILNS1_25lookback_scan_determinismE0ELb0ENS1_19wrapped_scan_configINS0_14default_configEfEEPKfPfSt10multipliesIfEffNS1_19lookback_scan_stateIfLb1ELb1EEEEEvT2_T3_mT5_T4_T7_jPT6_SK_bb,comdat
	.protected	_ZN7rocprim17ROCPRIM_304000_NS6detail20lookback_scan_kernelILNS1_25lookback_scan_determinismE0ELb0ENS1_19wrapped_scan_configINS0_14default_configEfEEPKfPfSt10multipliesIfEffNS1_19lookback_scan_stateIfLb1ELb1EEEEEvT2_T3_mT5_T4_T7_jPT6_SK_bb ; -- Begin function _ZN7rocprim17ROCPRIM_304000_NS6detail20lookback_scan_kernelILNS1_25lookback_scan_determinismE0ELb0ENS1_19wrapped_scan_configINS0_14default_configEfEEPKfPfSt10multipliesIfEffNS1_19lookback_scan_stateIfLb1ELb1EEEEEvT2_T3_mT5_T4_T7_jPT6_SK_bb
	.globl	_ZN7rocprim17ROCPRIM_304000_NS6detail20lookback_scan_kernelILNS1_25lookback_scan_determinismE0ELb0ENS1_19wrapped_scan_configINS0_14default_configEfEEPKfPfSt10multipliesIfEffNS1_19lookback_scan_stateIfLb1ELb1EEEEEvT2_T3_mT5_T4_T7_jPT6_SK_bb
	.p2align	8
	.type	_ZN7rocprim17ROCPRIM_304000_NS6detail20lookback_scan_kernelILNS1_25lookback_scan_determinismE0ELb0ENS1_19wrapped_scan_configINS0_14default_configEfEEPKfPfSt10multipliesIfEffNS1_19lookback_scan_stateIfLb1ELb1EEEEEvT2_T3_mT5_T4_T7_jPT6_SK_bb,@function
_ZN7rocprim17ROCPRIM_304000_NS6detail20lookback_scan_kernelILNS1_25lookback_scan_determinismE0ELb0ENS1_19wrapped_scan_configINS0_14default_configEfEEPKfPfSt10multipliesIfEffNS1_19lookback_scan_stateIfLb1ELb1EEEEEvT2_T3_mT5_T4_T7_jPT6_SK_bb: ; @_ZN7rocprim17ROCPRIM_304000_NS6detail20lookback_scan_kernelILNS1_25lookback_scan_determinismE0ELb0ENS1_19wrapped_scan_configINS0_14default_configEfEEPKfPfSt10multipliesIfEffNS1_19lookback_scan_stateIfLb1ELb1EEEEEvT2_T3_mT5_T4_T7_jPT6_SK_bb
; %bb.0:
	s_endpgm
	.section	.rodata,"a",@progbits
	.p2align	6, 0x0
	.amdhsa_kernel _ZN7rocprim17ROCPRIM_304000_NS6detail20lookback_scan_kernelILNS1_25lookback_scan_determinismE0ELb0ENS1_19wrapped_scan_configINS0_14default_configEfEEPKfPfSt10multipliesIfEffNS1_19lookback_scan_stateIfLb1ELb1EEEEEvT2_T3_mT5_T4_T7_jPT6_SK_bb
		.amdhsa_group_segment_fixed_size 0
		.amdhsa_private_segment_fixed_size 0
		.amdhsa_kernarg_size 68
		.amdhsa_user_sgpr_count 6
		.amdhsa_user_sgpr_private_segment_buffer 1
		.amdhsa_user_sgpr_dispatch_ptr 0
		.amdhsa_user_sgpr_queue_ptr 0
		.amdhsa_user_sgpr_kernarg_segment_ptr 1
		.amdhsa_user_sgpr_dispatch_id 0
		.amdhsa_user_sgpr_flat_scratch_init 0
		.amdhsa_user_sgpr_private_segment_size 0
		.amdhsa_uses_dynamic_stack 0
		.amdhsa_system_sgpr_private_segment_wavefront_offset 0
		.amdhsa_system_sgpr_workgroup_id_x 1
		.amdhsa_system_sgpr_workgroup_id_y 0
		.amdhsa_system_sgpr_workgroup_id_z 0
		.amdhsa_system_sgpr_workgroup_info 0
		.amdhsa_system_vgpr_workitem_id 0
		.amdhsa_next_free_vgpr 1
		.amdhsa_next_free_sgpr 0
		.amdhsa_reserve_vcc 0
		.amdhsa_reserve_flat_scratch 0
		.amdhsa_float_round_mode_32 0
		.amdhsa_float_round_mode_16_64 0
		.amdhsa_float_denorm_mode_32 3
		.amdhsa_float_denorm_mode_16_64 3
		.amdhsa_dx10_clamp 1
		.amdhsa_ieee_mode 1
		.amdhsa_fp16_overflow 0
		.amdhsa_exception_fp_ieee_invalid_op 0
		.amdhsa_exception_fp_denorm_src 0
		.amdhsa_exception_fp_ieee_div_zero 0
		.amdhsa_exception_fp_ieee_overflow 0
		.amdhsa_exception_fp_ieee_underflow 0
		.amdhsa_exception_fp_ieee_inexact 0
		.amdhsa_exception_int_div_zero 0
	.end_amdhsa_kernel
	.section	.text._ZN7rocprim17ROCPRIM_304000_NS6detail20lookback_scan_kernelILNS1_25lookback_scan_determinismE0ELb0ENS1_19wrapped_scan_configINS0_14default_configEfEEPKfPfSt10multipliesIfEffNS1_19lookback_scan_stateIfLb1ELb1EEEEEvT2_T3_mT5_T4_T7_jPT6_SK_bb,"axG",@progbits,_ZN7rocprim17ROCPRIM_304000_NS6detail20lookback_scan_kernelILNS1_25lookback_scan_determinismE0ELb0ENS1_19wrapped_scan_configINS0_14default_configEfEEPKfPfSt10multipliesIfEffNS1_19lookback_scan_stateIfLb1ELb1EEEEEvT2_T3_mT5_T4_T7_jPT6_SK_bb,comdat
.Lfunc_end56:
	.size	_ZN7rocprim17ROCPRIM_304000_NS6detail20lookback_scan_kernelILNS1_25lookback_scan_determinismE0ELb0ENS1_19wrapped_scan_configINS0_14default_configEfEEPKfPfSt10multipliesIfEffNS1_19lookback_scan_stateIfLb1ELb1EEEEEvT2_T3_mT5_T4_T7_jPT6_SK_bb, .Lfunc_end56-_ZN7rocprim17ROCPRIM_304000_NS6detail20lookback_scan_kernelILNS1_25lookback_scan_determinismE0ELb0ENS1_19wrapped_scan_configINS0_14default_configEfEEPKfPfSt10multipliesIfEffNS1_19lookback_scan_stateIfLb1ELb1EEEEEvT2_T3_mT5_T4_T7_jPT6_SK_bb
                                        ; -- End function
	.set _ZN7rocprim17ROCPRIM_304000_NS6detail20lookback_scan_kernelILNS1_25lookback_scan_determinismE0ELb0ENS1_19wrapped_scan_configINS0_14default_configEfEEPKfPfSt10multipliesIfEffNS1_19lookback_scan_stateIfLb1ELb1EEEEEvT2_T3_mT5_T4_T7_jPT6_SK_bb.num_vgpr, 0
	.set _ZN7rocprim17ROCPRIM_304000_NS6detail20lookback_scan_kernelILNS1_25lookback_scan_determinismE0ELb0ENS1_19wrapped_scan_configINS0_14default_configEfEEPKfPfSt10multipliesIfEffNS1_19lookback_scan_stateIfLb1ELb1EEEEEvT2_T3_mT5_T4_T7_jPT6_SK_bb.num_agpr, 0
	.set _ZN7rocprim17ROCPRIM_304000_NS6detail20lookback_scan_kernelILNS1_25lookback_scan_determinismE0ELb0ENS1_19wrapped_scan_configINS0_14default_configEfEEPKfPfSt10multipliesIfEffNS1_19lookback_scan_stateIfLb1ELb1EEEEEvT2_T3_mT5_T4_T7_jPT6_SK_bb.numbered_sgpr, 0
	.set _ZN7rocprim17ROCPRIM_304000_NS6detail20lookback_scan_kernelILNS1_25lookback_scan_determinismE0ELb0ENS1_19wrapped_scan_configINS0_14default_configEfEEPKfPfSt10multipliesIfEffNS1_19lookback_scan_stateIfLb1ELb1EEEEEvT2_T3_mT5_T4_T7_jPT6_SK_bb.num_named_barrier, 0
	.set _ZN7rocprim17ROCPRIM_304000_NS6detail20lookback_scan_kernelILNS1_25lookback_scan_determinismE0ELb0ENS1_19wrapped_scan_configINS0_14default_configEfEEPKfPfSt10multipliesIfEffNS1_19lookback_scan_stateIfLb1ELb1EEEEEvT2_T3_mT5_T4_T7_jPT6_SK_bb.private_seg_size, 0
	.set _ZN7rocprim17ROCPRIM_304000_NS6detail20lookback_scan_kernelILNS1_25lookback_scan_determinismE0ELb0ENS1_19wrapped_scan_configINS0_14default_configEfEEPKfPfSt10multipliesIfEffNS1_19lookback_scan_stateIfLb1ELb1EEEEEvT2_T3_mT5_T4_T7_jPT6_SK_bb.uses_vcc, 0
	.set _ZN7rocprim17ROCPRIM_304000_NS6detail20lookback_scan_kernelILNS1_25lookback_scan_determinismE0ELb0ENS1_19wrapped_scan_configINS0_14default_configEfEEPKfPfSt10multipliesIfEffNS1_19lookback_scan_stateIfLb1ELb1EEEEEvT2_T3_mT5_T4_T7_jPT6_SK_bb.uses_flat_scratch, 0
	.set _ZN7rocprim17ROCPRIM_304000_NS6detail20lookback_scan_kernelILNS1_25lookback_scan_determinismE0ELb0ENS1_19wrapped_scan_configINS0_14default_configEfEEPKfPfSt10multipliesIfEffNS1_19lookback_scan_stateIfLb1ELb1EEEEEvT2_T3_mT5_T4_T7_jPT6_SK_bb.has_dyn_sized_stack, 0
	.set _ZN7rocprim17ROCPRIM_304000_NS6detail20lookback_scan_kernelILNS1_25lookback_scan_determinismE0ELb0ENS1_19wrapped_scan_configINS0_14default_configEfEEPKfPfSt10multipliesIfEffNS1_19lookback_scan_stateIfLb1ELb1EEEEEvT2_T3_mT5_T4_T7_jPT6_SK_bb.has_recursion, 0
	.set _ZN7rocprim17ROCPRIM_304000_NS6detail20lookback_scan_kernelILNS1_25lookback_scan_determinismE0ELb0ENS1_19wrapped_scan_configINS0_14default_configEfEEPKfPfSt10multipliesIfEffNS1_19lookback_scan_stateIfLb1ELb1EEEEEvT2_T3_mT5_T4_T7_jPT6_SK_bb.has_indirect_call, 0
	.section	.AMDGPU.csdata,"",@progbits
; Kernel info:
; codeLenInByte = 4
; TotalNumSgprs: 4
; NumVgprs: 0
; ScratchSize: 0
; MemoryBound: 0
; FloatMode: 240
; IeeeMode: 1
; LDSByteSize: 0 bytes/workgroup (compile time only)
; SGPRBlocks: 0
; VGPRBlocks: 0
; NumSGPRsForWavesPerEU: 4
; NumVGPRsForWavesPerEU: 1
; Occupancy: 10
; WaveLimiterHint : 0
; COMPUTE_PGM_RSRC2:SCRATCH_EN: 0
; COMPUTE_PGM_RSRC2:USER_SGPR: 6
; COMPUTE_PGM_RSRC2:TRAP_HANDLER: 0
; COMPUTE_PGM_RSRC2:TGID_X_EN: 1
; COMPUTE_PGM_RSRC2:TGID_Y_EN: 0
; COMPUTE_PGM_RSRC2:TGID_Z_EN: 0
; COMPUTE_PGM_RSRC2:TIDIG_COMP_CNT: 0
	.section	.text._ZN7rocprim17ROCPRIM_304000_NS6detail20lookback_scan_kernelILNS1_25lookback_scan_determinismE0ELb0ENS1_19wrapped_scan_configINS0_14default_configEfEEPKfPfSt10multipliesIfEffNS1_19lookback_scan_stateIfLb0ELb1EEEEEvT2_T3_mT5_T4_T7_jPT6_SK_bb,"axG",@progbits,_ZN7rocprim17ROCPRIM_304000_NS6detail20lookback_scan_kernelILNS1_25lookback_scan_determinismE0ELb0ENS1_19wrapped_scan_configINS0_14default_configEfEEPKfPfSt10multipliesIfEffNS1_19lookback_scan_stateIfLb0ELb1EEEEEvT2_T3_mT5_T4_T7_jPT6_SK_bb,comdat
	.protected	_ZN7rocprim17ROCPRIM_304000_NS6detail20lookback_scan_kernelILNS1_25lookback_scan_determinismE0ELb0ENS1_19wrapped_scan_configINS0_14default_configEfEEPKfPfSt10multipliesIfEffNS1_19lookback_scan_stateIfLb0ELb1EEEEEvT2_T3_mT5_T4_T7_jPT6_SK_bb ; -- Begin function _ZN7rocprim17ROCPRIM_304000_NS6detail20lookback_scan_kernelILNS1_25lookback_scan_determinismE0ELb0ENS1_19wrapped_scan_configINS0_14default_configEfEEPKfPfSt10multipliesIfEffNS1_19lookback_scan_stateIfLb0ELb1EEEEEvT2_T3_mT5_T4_T7_jPT6_SK_bb
	.globl	_ZN7rocprim17ROCPRIM_304000_NS6detail20lookback_scan_kernelILNS1_25lookback_scan_determinismE0ELb0ENS1_19wrapped_scan_configINS0_14default_configEfEEPKfPfSt10multipliesIfEffNS1_19lookback_scan_stateIfLb0ELb1EEEEEvT2_T3_mT5_T4_T7_jPT6_SK_bb
	.p2align	8
	.type	_ZN7rocprim17ROCPRIM_304000_NS6detail20lookback_scan_kernelILNS1_25lookback_scan_determinismE0ELb0ENS1_19wrapped_scan_configINS0_14default_configEfEEPKfPfSt10multipliesIfEffNS1_19lookback_scan_stateIfLb0ELb1EEEEEvT2_T3_mT5_T4_T7_jPT6_SK_bb,@function
_ZN7rocprim17ROCPRIM_304000_NS6detail20lookback_scan_kernelILNS1_25lookback_scan_determinismE0ELb0ENS1_19wrapped_scan_configINS0_14default_configEfEEPKfPfSt10multipliesIfEffNS1_19lookback_scan_stateIfLb0ELb1EEEEEvT2_T3_mT5_T4_T7_jPT6_SK_bb: ; @_ZN7rocprim17ROCPRIM_304000_NS6detail20lookback_scan_kernelILNS1_25lookback_scan_determinismE0ELb0ENS1_19wrapped_scan_configINS0_14default_configEfEEPKfPfSt10multipliesIfEffNS1_19lookback_scan_stateIfLb0ELb1EEEEEvT2_T3_mT5_T4_T7_jPT6_SK_bb
; %bb.0:
	s_load_dword s3, s[4:5], 0x28
	s_load_dwordx4 s[24:27], s[4:5], 0x0
	s_load_dwordx2 s[0:1], s[4:5], 0x10
	s_mul_i32 s2, s6, 0xf00
	v_lshlrev_b32_e32 v31, 2, v0
	s_waitcnt lgkmcnt(0)
	s_add_i32 s8, s3, -1
	s_mul_i32 s7, s8, 0xf00
	s_sub_u32 s7, s0, s7
	s_subb_u32 s23, s1, 0
	s_mov_b32 s3, 0
	s_cmp_lg_u32 s6, s8
	s_cselect_b64 s[28:29], -1, 0
	s_lshl_b64 s[30:31], s[2:3], 2
	s_add_u32 s2, s24, s30
	s_addc_u32 s3, s25, s31
	s_mov_b64 s[0:1], -1
	s_and_b64 vcc, exec, s[28:29]
	s_cbranch_vccz .LBB57_2
; %bb.1:
	v_mov_b32_e32 v1, s3
	v_add_co_u32_e32 v5, vcc, s2, v31
	v_addc_co_u32_e32 v6, vcc, 0, v1, vcc
	v_add_co_u32_e32 v1, vcc, 0x1000, v5
	v_addc_co_u32_e32 v2, vcc, 0, v6, vcc
	;; [unrolled: 2-line block ×3, first 2 shown]
	global_load_dword v7, v31, s[2:3]
	global_load_dword v8, v31, s[2:3] offset:1024
	global_load_dword v9, v31, s[2:3] offset:2048
	global_load_dword v10, v31, s[2:3] offset:3072
	global_load_dword v11, v[1:2], off
	global_load_dword v12, v[1:2], off offset:1024
	global_load_dword v13, v[1:2], off offset:2048
	;; [unrolled: 1-line block ×3, first 2 shown]
	global_load_dword v15, v[3:4], off
	global_load_dword v16, v[3:4], off offset:1024
	global_load_dword v17, v[3:4], off offset:2048
	;; [unrolled: 1-line block ×3, first 2 shown]
	v_add_co_u32_e32 v1, vcc, 0x3000, v5
	v_addc_co_u32_e32 v2, vcc, 0, v6, vcc
	global_load_dword v3, v[1:2], off
	global_load_dword v4, v[1:2], off offset:1024
	global_load_dword v5, v[1:2], off offset:2048
	s_mov_b64 s[0:1], 0
	s_waitcnt vmcnt(13)
	ds_write2st64_b32 v31, v7, v8 offset1:4
	s_waitcnt vmcnt(11)
	ds_write2st64_b32 v31, v9, v10 offset0:8 offset1:12
	s_waitcnt vmcnt(9)
	ds_write2st64_b32 v31, v11, v12 offset0:16 offset1:20
	;; [unrolled: 2-line block ×6, first 2 shown]
	s_waitcnt vmcnt(0)
	ds_write_b32 v31, v5 offset:14336
	s_waitcnt lgkmcnt(0)
	s_barrier
.LBB57_2:
	s_andn2_b64 vcc, exec, s[0:1]
	v_cmp_gt_u32_e64 s[0:1], s7, v0
	s_cbranch_vccnz .LBB57_34
; %bb.3:
	s_load_dword s8, s[2:3], 0x0
	v_mov_b32_e32 v1, s3
	v_add_co_u32_e32 v17, vcc, s2, v31
	v_addc_co_u32_e32 v18, vcc, 0, v1, vcc
	s_waitcnt lgkmcnt(0)
	s_mov_b32 s9, s8
	s_mov_b32 s10, s8
	;; [unrolled: 1-line block ×14, first 2 shown]
	v_mov_b32_e32 v1, s8
	v_mov_b32_e32 v2, s9
	v_mov_b32_e32 v3, s10
	v_mov_b32_e32 v4, s11
	v_mov_b32_e32 v5, s12
	v_mov_b32_e32 v6, s13
	v_mov_b32_e32 v7, s14
	v_mov_b32_e32 v8, s15
	v_mov_b32_e32 v9, s16
	v_mov_b32_e32 v10, s17
	v_mov_b32_e32 v11, s18
	v_mov_b32_e32 v12, s19
	v_mov_b32_e32 v13, s20
	v_mov_b32_e32 v14, s21
	v_mov_b32_e32 v15, s22
	v_mov_b32_e32 v16, s23
	s_and_saveexec_b64 s[2:3], s[0:1]
	s_cbranch_execz .LBB57_5
; %bb.4:
	global_load_dword v1, v[17:18], off
	v_mov_b32_e32 v2, s8
	v_mov_b32_e32 v3, s8
	;; [unrolled: 1-line block ×14, first 2 shown]
.LBB57_5:
	s_or_b64 exec, exec, s[2:3]
	v_or_b32_e32 v16, 0x100, v0
	v_cmp_gt_u32_e32 vcc, s7, v16
	s_and_saveexec_b64 s[0:1], vcc
	s_cbranch_execz .LBB57_7
; %bb.6:
	global_load_dword v2, v[17:18], off offset:1024
.LBB57_7:
	s_or_b64 exec, exec, s[0:1]
	v_or_b32_e32 v16, 0x200, v0
	v_cmp_gt_u32_e32 vcc, s7, v16
	s_and_saveexec_b64 s[0:1], vcc
	s_cbranch_execz .LBB57_9
; %bb.8:
	global_load_dword v3, v[17:18], off offset:2048
.LBB57_9:
	;; [unrolled: 8-line block ×3, first 2 shown]
	s_or_b64 exec, exec, s[0:1]
	v_or_b32_e32 v16, 0x400, v0
	v_cmp_gt_u32_e32 vcc, s7, v16
	s_and_saveexec_b64 s[0:1], vcc
	s_cbranch_execz .LBB57_13
; %bb.12:
	v_add_co_u32_e32 v19, vcc, 0x1000, v17
	v_addc_co_u32_e32 v20, vcc, 0, v18, vcc
	global_load_dword v5, v[19:20], off
.LBB57_13:
	s_or_b64 exec, exec, s[0:1]
	v_or_b32_e32 v16, 0x500, v0
	v_cmp_gt_u32_e32 vcc, s7, v16
	s_and_saveexec_b64 s[0:1], vcc
	s_cbranch_execz .LBB57_15
; %bb.14:
	v_add_co_u32_e32 v19, vcc, 0x1000, v17
	v_addc_co_u32_e32 v20, vcc, 0, v18, vcc
	global_load_dword v6, v[19:20], off offset:1024
.LBB57_15:
	s_or_b64 exec, exec, s[0:1]
	v_or_b32_e32 v16, 0x600, v0
	v_cmp_gt_u32_e32 vcc, s7, v16
	s_and_saveexec_b64 s[0:1], vcc
	s_cbranch_execz .LBB57_17
; %bb.16:
	v_add_co_u32_e32 v19, vcc, 0x1000, v17
	v_addc_co_u32_e32 v20, vcc, 0, v18, vcc
	global_load_dword v7, v[19:20], off offset:2048
.LBB57_17:
	;; [unrolled: 10-line block ×3, first 2 shown]
	s_or_b64 exec, exec, s[0:1]
	v_or_b32_e32 v16, 0x800, v0
	v_cmp_gt_u32_e32 vcc, s7, v16
	s_and_saveexec_b64 s[0:1], vcc
	s_cbranch_execz .LBB57_21
; %bb.20:
	v_add_co_u32_e32 v19, vcc, 0x2000, v17
	v_addc_co_u32_e32 v20, vcc, 0, v18, vcc
	global_load_dword v9, v[19:20], off
.LBB57_21:
	s_or_b64 exec, exec, s[0:1]
	v_or_b32_e32 v16, 0x900, v0
	v_cmp_gt_u32_e32 vcc, s7, v16
	s_and_saveexec_b64 s[0:1], vcc
	s_cbranch_execz .LBB57_23
; %bb.22:
	v_add_co_u32_e32 v19, vcc, 0x2000, v17
	v_addc_co_u32_e32 v20, vcc, 0, v18, vcc
	global_load_dword v10, v[19:20], off offset:1024
.LBB57_23:
	s_or_b64 exec, exec, s[0:1]
	v_or_b32_e32 v16, 0xa00, v0
	v_cmp_gt_u32_e32 vcc, s7, v16
	s_and_saveexec_b64 s[0:1], vcc
	s_cbranch_execz .LBB57_25
; %bb.24:
	v_add_co_u32_e32 v19, vcc, 0x2000, v17
	v_addc_co_u32_e32 v20, vcc, 0, v18, vcc
	global_load_dword v11, v[19:20], off offset:2048
.LBB57_25:
	;; [unrolled: 10-line block ×3, first 2 shown]
	s_or_b64 exec, exec, s[0:1]
	v_or_b32_e32 v16, 0xc00, v0
	v_cmp_gt_u32_e32 vcc, s7, v16
	s_and_saveexec_b64 s[0:1], vcc
	s_cbranch_execz .LBB57_29
; %bb.28:
	v_add_co_u32_e32 v19, vcc, 0x3000, v17
	v_addc_co_u32_e32 v20, vcc, 0, v18, vcc
	global_load_dword v13, v[19:20], off
.LBB57_29:
	s_or_b64 exec, exec, s[0:1]
	v_or_b32_e32 v16, 0xd00, v0
	v_cmp_gt_u32_e32 vcc, s7, v16
	s_and_saveexec_b64 s[0:1], vcc
	s_cbranch_execz .LBB57_31
; %bb.30:
	v_add_co_u32_e32 v19, vcc, 0x3000, v17
	v_addc_co_u32_e32 v20, vcc, 0, v18, vcc
	global_load_dword v14, v[19:20], off offset:1024
.LBB57_31:
	s_or_b64 exec, exec, s[0:1]
	v_or_b32_e32 v16, 0xe00, v0
	v_cmp_gt_u32_e32 vcc, s7, v16
	s_and_saveexec_b64 s[0:1], vcc
	s_cbranch_execz .LBB57_33
; %bb.32:
	v_add_co_u32_e32 v15, vcc, 0x3000, v17
	v_addc_co_u32_e32 v16, vcc, 0, v18, vcc
	global_load_dword v15, v[15:16], off offset:2048
.LBB57_33:
	s_or_b64 exec, exec, s[0:1]
	s_waitcnt vmcnt(0)
	ds_write2st64_b32 v31, v1, v2 offset1:4
	ds_write2st64_b32 v31, v3, v4 offset0:8 offset1:12
	ds_write2st64_b32 v31, v5, v6 offset0:16 offset1:20
	;; [unrolled: 1-line block ×6, first 2 shown]
	ds_write_b32 v31, v15 offset:14336
	s_waitcnt lgkmcnt(0)
	s_barrier
.LBB57_34:
	v_mul_u32_u24_e32 v32, 60, v0
	ds_read2_b32 v[27:28], v32 offset1:1
	ds_read2_b32 v[29:30], v32 offset0:2 offset1:3
	ds_read2_b32 v[25:26], v32 offset0:4 offset1:5
	;; [unrolled: 1-line block ×6, first 2 shown]
	ds_read_b32 v33, v32 offset:56
	s_load_dwordx2 s[12:13], s[4:5], 0x20
	s_cmp_lg_u32 s6, 0
	v_mbcnt_lo_u32_b32 v36, -1, 0
	v_lshrrev_b32_e32 v34, 6, v0
	v_or_b32_e32 v35, 63, v0
	s_waitcnt lgkmcnt(0)
	s_barrier
	s_cbranch_scc0 .LBB57_56
; %bb.35:
	v_mul_f32_e32 v1, v27, v28
	v_mul_f32_e32 v1, v29, v1
	v_mul_f32_e32 v1, v30, v1
	v_mul_f32_e32 v1, v25, v1
	v_mul_f32_e32 v1, v26, v1
	v_mul_f32_e32 v1, v23, v1
	v_mul_f32_e32 v1, v24, v1
	v_mul_f32_e32 v1, v21, v1
	v_mul_f32_e32 v1, v22, v1
	v_mul_f32_e32 v1, v19, v1
	v_mul_f32_e32 v1, v20, v1
	v_mul_f32_e32 v1, v17, v1
	v_mul_f32_e32 v1, v18, v1
	v_mul_f32_e32 v1, v33, v1
	v_mbcnt_hi_u32_b32 v3, -1, v36
	v_and_b32_e32 v2, 15, v3
	v_mov_b32_dpp v4, v1 row_shr:1 row_mask:0xf bank_mask:0xf
	v_mul_f32_e32 v4, v1, v4
	v_cmp_eq_u32_e32 vcc, 0, v2
	v_cndmask_b32_e32 v1, v4, v1, vcc
	v_cmp_lt_u32_e32 vcc, 1, v2
	s_nop 0
	v_mov_b32_dpp v4, v1 row_shr:2 row_mask:0xf bank_mask:0xf
	v_mul_f32_e32 v4, v1, v4
	v_cndmask_b32_e32 v1, v1, v4, vcc
	v_cmp_lt_u32_e32 vcc, 3, v2
	s_nop 0
	v_mov_b32_dpp v4, v1 row_shr:4 row_mask:0xf bank_mask:0xf
	v_mul_f32_e32 v4, v1, v4
	;; [unrolled: 5-line block ×3, first 2 shown]
	v_cndmask_b32_e32 v1, v1, v4, vcc
	v_and_b32_e32 v4, 16, v3
	v_cmp_eq_u32_e32 vcc, 0, v4
	v_mov_b32_dpp v2, v1 row_bcast:15 row_mask:0xf bank_mask:0xf
	v_mul_f32_e32 v2, v1, v2
	v_cndmask_b32_e32 v1, v2, v1, vcc
	v_cmp_lt_u32_e32 vcc, 31, v3
	s_nop 0
	v_mov_b32_dpp v2, v1 row_bcast:31 row_mask:0xf bank_mask:0xf
	v_mul_f32_e32 v2, v1, v2
	v_cndmask_b32_e32 v1, v1, v2, vcc
	v_cmp_eq_u32_e32 vcc, v0, v35
	s_and_saveexec_b64 s[0:1], vcc
; %bb.36:
	v_lshlrev_b32_e32 v2, 2, v34
	ds_write_b32 v2, v1
; %bb.37:
	s_or_b64 exec, exec, s[0:1]
	v_cmp_gt_u32_e32 vcc, 4, v0
	s_waitcnt lgkmcnt(0)
	s_barrier
	s_and_saveexec_b64 s[0:1], vcc
	s_cbranch_execz .LBB57_39
; %bb.38:
	ds_read_b32 v2, v31
	v_and_b32_e32 v4, 3, v3
	v_cmp_eq_u32_e32 vcc, 0, v4
	s_waitcnt lgkmcnt(0)
	v_mov_b32_dpp v5, v2 row_shr:1 row_mask:0xf bank_mask:0xf
	v_mul_f32_e32 v5, v2, v5
	v_cndmask_b32_e32 v2, v5, v2, vcc
	v_cmp_lt_u32_e32 vcc, 1, v4
	s_nop 0
	v_mov_b32_dpp v5, v2 row_shr:2 row_mask:0xf bank_mask:0xf
	v_mul_f32_e32 v5, v2, v5
	v_cndmask_b32_e32 v2, v2, v5, vcc
	ds_write_b32 v31, v2
.LBB57_39:
	s_or_b64 exec, exec, s[0:1]
	v_cmp_gt_u32_e32 vcc, 64, v0
	v_cmp_lt_u32_e64 s[0:1], 63, v0
	s_waitcnt lgkmcnt(0)
	s_barrier
                                        ; implicit-def: $vgpr10
	s_and_saveexec_b64 s[2:3], s[0:1]
	s_cbranch_execz .LBB57_41
; %bb.40:
	v_lshl_add_u32 v2, v34, 2, -4
	ds_read_b32 v10, v2
	s_waitcnt lgkmcnt(0)
	v_mul_f32_e32 v1, v1, v10
.LBB57_41:
	s_or_b64 exec, exec, s[2:3]
	v_subrev_co_u32_e64 v2, s[0:1], 1, v3
	v_and_b32_e32 v4, 64, v3
	v_cmp_lt_i32_e64 s[2:3], v2, v4
	v_cndmask_b32_e64 v2, v2, v3, s[2:3]
	v_lshlrev_b32_e32 v2, 2, v2
	ds_bpermute_b32 v11, v2, v1
	s_and_saveexec_b64 s[2:3], vcc
	s_cbranch_execz .LBB57_61
; %bb.42:
	v_mov_b32_e32 v6, 0
	ds_read_b32 v1, v6 offset:12
	s_and_saveexec_b64 s[8:9], s[0:1]
	s_cbranch_execz .LBB57_44
; %bb.43:
	s_add_i32 s10, s6, 64
	s_mov_b32 s11, 0
	s_lshl_b64 s[10:11], s[10:11], 3
	s_add_u32 s10, s12, s10
	v_mov_b32_e32 v2, 1
	s_addc_u32 s11, s13, s11
	s_waitcnt lgkmcnt(0)
	global_store_dwordx2 v6, v[1:2], s[10:11]
.LBB57_44:
	s_or_b64 exec, exec, s[8:9]
	v_xad_u32 v2, v3, -1, s6
	v_add_u32_e32 v5, 64, v2
	v_lshlrev_b64 v[4:5], 3, v[5:6]
	v_mov_b32_e32 v8, s13
	v_add_co_u32_e32 v7, vcc, s12, v4
	v_addc_co_u32_e32 v8, vcc, v8, v5, vcc
	global_load_dwordx2 v[4:5], v[7:8], off glc
	s_waitcnt vmcnt(0)
	v_cmp_eq_u16_sdwa s[10:11], v5, v6 src0_sel:BYTE_0 src1_sel:DWORD
	s_and_saveexec_b64 s[8:9], s[10:11]
	s_cbranch_execz .LBB57_48
; %bb.45:
	s_mov_b64 s[10:11], 0
	v_mov_b32_e32 v6, 0
.LBB57_46:                              ; =>This Inner Loop Header: Depth=1
	global_load_dwordx2 v[4:5], v[7:8], off glc
	s_waitcnt vmcnt(0)
	v_cmp_ne_u16_sdwa s[14:15], v5, v6 src0_sel:BYTE_0 src1_sel:DWORD
	s_or_b64 s[10:11], s[14:15], s[10:11]
	s_andn2_b64 exec, exec, s[10:11]
	s_cbranch_execnz .LBB57_46
; %bb.47:
	s_or_b64 exec, exec, s[10:11]
.LBB57_48:
	s_or_b64 exec, exec, s[8:9]
	v_and_b32_e32 v39, 63, v3
	v_cmp_ne_u32_e32 vcc, 63, v39
	v_mov_b32_e32 v12, 2
	v_lshlrev_b64 v[6:7], v3, -1
	v_addc_co_u32_e32 v13, vcc, 0, v3, vcc
	v_cmp_eq_u16_sdwa s[8:9], v5, v12 src0_sel:BYTE_0 src1_sel:DWORD
	v_lshlrev_b32_e32 v13, 2, v13
	v_and_b32_e32 v8, s9, v7
	ds_bpermute_b32 v15, v13, v4
	v_or_b32_e32 v8, 0x80000000, v8
	v_and_b32_e32 v9, s8, v6
	v_ffbl_b32_e32 v8, v8
	v_add_u32_e32 v8, 32, v8
	v_ffbl_b32_e32 v9, v9
	v_min_u32_e32 v8, v9, v8
	v_add_u32_e32 v14, 1, v3
	s_waitcnt lgkmcnt(0)
	v_mul_f32_e32 v9, v4, v15
	v_cmp_gt_u32_e32 vcc, v14, v8
	v_cndmask_b32_e32 v4, v9, v4, vcc
	v_cmp_gt_u32_e32 vcc, 62, v39
	v_cndmask_b32_e64 v9, 0, 2, vcc
	v_add_lshl_u32 v15, v9, v3, 2
	ds_bpermute_b32 v9, v15, v4
	v_add_u32_e32 v16, 2, v3
	v_cmp_gt_u32_e32 vcc, v16, v8
	v_add_u32_e32 v38, 4, v3
	v_add_u32_e32 v41, 8, v3
	s_waitcnt lgkmcnt(0)
	v_mul_f32_e32 v9, v4, v9
	v_cndmask_b32_e32 v4, v9, v4, vcc
	v_cmp_gt_u32_e32 vcc, 60, v39
	v_cndmask_b32_e64 v9, 0, 4, vcc
	v_add_lshl_u32 v37, v9, v3, 2
	ds_bpermute_b32 v9, v37, v4
	v_cmp_gt_u32_e32 vcc, v38, v8
	v_add_u32_e32 v43, 16, v3
	v_add_u32_e32 v45, 32, v3
	s_waitcnt lgkmcnt(0)
	v_mul_f32_e32 v9, v4, v9
	v_cndmask_b32_e32 v4, v9, v4, vcc
	v_cmp_gt_u32_e32 vcc, 56, v39
	v_cndmask_b32_e64 v9, 0, 8, vcc
	v_add_lshl_u32 v40, v9, v3, 2
	ds_bpermute_b32 v9, v40, v4
	v_cmp_gt_u32_e32 vcc, v41, v8
	s_waitcnt lgkmcnt(0)
	v_mul_f32_e32 v9, v4, v9
	v_cndmask_b32_e32 v4, v9, v4, vcc
	v_cmp_gt_u32_e32 vcc, 48, v39
	v_cndmask_b32_e64 v9, 0, 16, vcc
	v_add_lshl_u32 v42, v9, v3, 2
	ds_bpermute_b32 v9, v42, v4
	v_cmp_gt_u32_e32 vcc, v43, v8
	s_waitcnt lgkmcnt(0)
	v_mul_f32_e32 v9, v4, v9
	v_cndmask_b32_e32 v4, v9, v4, vcc
	v_mov_b32_e32 v9, 0x80
	v_lshl_or_b32 v44, v3, 2, v9
	ds_bpermute_b32 v9, v44, v4
	v_cmp_gt_u32_e32 vcc, v45, v8
	s_waitcnt lgkmcnt(0)
	v_mul_f32_e32 v3, v4, v9
	v_cndmask_b32_e32 v4, v3, v4, vcc
	v_mov_b32_e32 v3, 0
	s_branch .LBB57_52
.LBB57_49:                              ;   in Loop: Header=BB57_52 Depth=1
	s_or_b64 exec, exec, s[10:11]
.LBB57_50:                              ;   in Loop: Header=BB57_52 Depth=1
	s_or_b64 exec, exec, s[8:9]
	v_cmp_eq_u16_sdwa s[8:9], v5, v12 src0_sel:BYTE_0 src1_sel:DWORD
	v_and_b32_e32 v8, s9, v7
	ds_bpermute_b32 v46, v13, v4
	v_or_b32_e32 v8, 0x80000000, v8
	v_and_b32_e32 v9, s8, v6
	v_ffbl_b32_e32 v8, v8
	v_add_u32_e32 v8, 32, v8
	v_ffbl_b32_e32 v9, v9
	v_min_u32_e32 v8, v9, v8
	s_waitcnt lgkmcnt(0)
	v_mul_f32_e32 v9, v4, v46
	v_cmp_gt_u32_e32 vcc, v14, v8
	v_cndmask_b32_e32 v4, v9, v4, vcc
	ds_bpermute_b32 v9, v15, v4
	v_cmp_gt_u32_e32 vcc, v16, v8
	v_subrev_u32_e32 v2, 64, v2
	s_mov_b64 s[8:9], 0
	s_waitcnt lgkmcnt(0)
	v_mul_f32_e32 v9, v4, v9
	v_cndmask_b32_e32 v4, v9, v4, vcc
	ds_bpermute_b32 v9, v37, v4
	v_cmp_gt_u32_e32 vcc, v38, v8
	s_waitcnt lgkmcnt(0)
	v_mul_f32_e32 v9, v4, v9
	v_cndmask_b32_e32 v4, v9, v4, vcc
	ds_bpermute_b32 v9, v40, v4
	v_cmp_gt_u32_e32 vcc, v41, v8
	;; [unrolled: 5-line block ×4, first 2 shown]
	s_waitcnt lgkmcnt(0)
	v_mul_f32_e32 v9, v4, v9
	v_cndmask_b32_e32 v4, v9, v4, vcc
	v_mul_f32_e32 v4, v39, v4
.LBB57_51:                              ;   in Loop: Header=BB57_52 Depth=1
	s_and_b64 vcc, exec, s[8:9]
	s_cbranch_vccnz .LBB57_57
.LBB57_52:                              ; =>This Loop Header: Depth=1
                                        ;     Child Loop BB57_55 Depth 2
	v_cmp_ne_u16_sdwa s[8:9], v5, v12 src0_sel:BYTE_0 src1_sel:DWORD
	v_mov_b32_e32 v39, v4
	s_cmp_lg_u64 s[8:9], exec
	s_mov_b64 s[8:9], -1
                                        ; implicit-def: $vgpr4
                                        ; implicit-def: $vgpr5
	s_cbranch_scc1 .LBB57_51
; %bb.53:                               ;   in Loop: Header=BB57_52 Depth=1
	v_lshlrev_b64 v[4:5], 3, v[2:3]
	v_mov_b32_e32 v9, s13
	v_add_co_u32_e32 v8, vcc, s12, v4
	v_addc_co_u32_e32 v9, vcc, v9, v5, vcc
	global_load_dwordx2 v[4:5], v[8:9], off glc
	s_waitcnt vmcnt(0)
	v_cmp_eq_u16_sdwa s[10:11], v5, v3 src0_sel:BYTE_0 src1_sel:DWORD
	s_and_saveexec_b64 s[8:9], s[10:11]
	s_cbranch_execz .LBB57_50
; %bb.54:                               ;   in Loop: Header=BB57_52 Depth=1
	s_mov_b64 s[10:11], 0
.LBB57_55:                              ;   Parent Loop BB57_52 Depth=1
                                        ; =>  This Inner Loop Header: Depth=2
	global_load_dwordx2 v[4:5], v[8:9], off glc
	s_waitcnt vmcnt(0)
	v_cmp_ne_u16_sdwa s[14:15], v5, v3 src0_sel:BYTE_0 src1_sel:DWORD
	s_or_b64 s[10:11], s[14:15], s[10:11]
	s_andn2_b64 exec, exec, s[10:11]
	s_cbranch_execnz .LBB57_55
	s_branch .LBB57_49
.LBB57_56:
                                        ; implicit-def: $vgpr1_vgpr2_vgpr3_vgpr4_vgpr5_vgpr6_vgpr7_vgpr8_vgpr9_vgpr10_vgpr11_vgpr12_vgpr13_vgpr14_vgpr15_vgpr16
	s_load_dwordx4 s[8:11], s[4:5], 0x30
	s_cbranch_execnz .LBB57_62
	s_branch .LBB57_73
.LBB57_57:
	s_and_saveexec_b64 s[8:9], s[0:1]
	s_cbranch_execz .LBB57_59
; %bb.58:
	s_add_i32 s10, s6, 64
	s_mov_b32 s11, 0
	s_lshl_b64 s[10:11], s[10:11], 3
	s_add_u32 s10, s12, s10
	v_mul_f32_e32 v1, v1, v39
	v_mov_b32_e32 v2, 2
	s_addc_u32 s11, s13, s11
	v_mov_b32_e32 v3, 0
	global_store_dwordx2 v3, v[1:2], s[10:11]
.LBB57_59:
	s_or_b64 exec, exec, s[8:9]
	v_cmp_eq_u32_e32 vcc, 0, v0
	s_and_b64 exec, exec, vcc
; %bb.60:
	v_mov_b32_e32 v1, 0
	ds_write_b32 v1, v39 offset:12
.LBB57_61:
	s_or_b64 exec, exec, s[2:3]
	v_mov_b32_e32 v1, 0
	s_waitcnt vmcnt(0) lgkmcnt(0)
	s_barrier
	ds_read_b32 v1, v1 offset:12
	v_cndmask_b32_e64 v2, v11, v10, s[0:1]
	v_mul_f32_e32 v2, v27, v2
	v_cmp_eq_u32_e32 vcc, 0, v0
	v_cndmask_b32_e32 v2, v2, v27, vcc
	s_waitcnt lgkmcnt(0)
	v_mul_f32_e32 v1, v2, v1
	v_mul_f32_e32 v2, v28, v1
	;; [unrolled: 1-line block ×15, first 2 shown]
	s_load_dwordx4 s[8:11], s[4:5], 0x30
	s_branch .LBB57_73
.LBB57_62:
	s_load_dword s0, s[4:5], 0x40
	v_cmp_eq_u32_e32 vcc, 0, v0
	s_waitcnt lgkmcnt(0)
	s_bitcmp1_b32 s0, 0
	s_cselect_b64 s[0:1], -1, 0
	s_and_b64 s[2:3], vcc, s[0:1]
	s_and_saveexec_b64 s[0:1], s[2:3]
	s_cbranch_execz .LBB57_64
; %bb.63:
	v_mov_b32_e32 v1, 0
	global_load_dword v1, v1, s[8:9]
	s_waitcnt vmcnt(0)
	v_mul_f32_e32 v27, v27, v1
.LBB57_64:
	s_or_b64 exec, exec, s[0:1]
	v_mul_f32_e32 v1, v27, v28
	v_mul_f32_e32 v1, v29, v1
	;; [unrolled: 1-line block ×14, first 2 shown]
	v_mbcnt_hi_u32_b32 v1, -1, v36
	v_and_b32_e32 v3, 15, v1
	v_mov_b32_dpp v4, v2 row_shr:1 row_mask:0xf bank_mask:0xf
	v_mul_f32_e32 v4, v2, v4
	v_cmp_eq_u32_e64 s[0:1], 0, v3
	v_cndmask_b32_e64 v2, v4, v2, s[0:1]
	v_cmp_lt_u32_e64 s[0:1], 1, v3
	s_nop 0
	v_mov_b32_dpp v4, v2 row_shr:2 row_mask:0xf bank_mask:0xf
	v_mul_f32_e32 v4, v2, v4
	v_cndmask_b32_e64 v2, v2, v4, s[0:1]
	v_cmp_lt_u32_e64 s[0:1], 3, v3
	s_nop 0
	v_mov_b32_dpp v4, v2 row_shr:4 row_mask:0xf bank_mask:0xf
	v_mul_f32_e32 v4, v2, v4
	;; [unrolled: 5-line block ×3, first 2 shown]
	v_cndmask_b32_e64 v2, v2, v4, s[0:1]
	v_and_b32_e32 v4, 16, v1
	v_cmp_eq_u32_e64 s[0:1], 0, v4
	v_mov_b32_dpp v3, v2 row_bcast:15 row_mask:0xf bank_mask:0xf
	v_mul_f32_e32 v3, v2, v3
	v_cndmask_b32_e64 v2, v3, v2, s[0:1]
	v_cmp_lt_u32_e64 s[0:1], 31, v1
	s_nop 0
	v_mov_b32_dpp v3, v2 row_bcast:31 row_mask:0xf bank_mask:0xf
	v_mul_f32_e32 v3, v2, v3
	v_cndmask_b32_e64 v2, v2, v3, s[0:1]
	v_cmp_eq_u32_e64 s[0:1], v0, v35
	s_and_saveexec_b64 s[2:3], s[0:1]
; %bb.65:
	v_lshlrev_b32_e32 v3, 2, v34
	ds_write_b32 v3, v2
; %bb.66:
	s_or_b64 exec, exec, s[2:3]
	v_cmp_gt_u32_e64 s[0:1], 4, v0
	s_waitcnt lgkmcnt(0)
	s_barrier
	s_and_saveexec_b64 s[2:3], s[0:1]
	s_cbranch_execz .LBB57_68
; %bb.67:
	s_movk_i32 s0, 0xffc8
	v_mad_i32_i24 v3, v0, s0, v32
	ds_read_b32 v4, v3
	v_and_b32_e32 v5, 3, v1
	v_cmp_eq_u32_e64 s[0:1], 0, v5
	s_waitcnt lgkmcnt(0)
	v_mov_b32_dpp v6, v4 row_shr:1 row_mask:0xf bank_mask:0xf
	v_mul_f32_e32 v6, v4, v6
	v_cndmask_b32_e64 v4, v6, v4, s[0:1]
	v_cmp_lt_u32_e64 s[0:1], 1, v5
	s_nop 0
	v_mov_b32_dpp v6, v4 row_shr:2 row_mask:0xf bank_mask:0xf
	v_mul_f32_e32 v6, v4, v6
	v_cndmask_b32_e64 v4, v4, v6, s[0:1]
	ds_write_b32 v3, v4
.LBB57_68:
	s_or_b64 exec, exec, s[2:3]
	v_cmp_lt_u32_e64 s[0:1], 63, v0
	s_waitcnt lgkmcnt(0)
	s_barrier
                                        ; implicit-def: $vgpr3
	s_and_saveexec_b64 s[2:3], s[0:1]
	s_cbranch_execz .LBB57_70
; %bb.69:
	v_lshl_add_u32 v3, v34, 2, -4
	ds_read_b32 v3, v3
	s_waitcnt lgkmcnt(0)
	v_mul_f32_e32 v2, v2, v3
.LBB57_70:
	s_or_b64 exec, exec, s[2:3]
	v_subrev_co_u32_e64 v4, s[0:1], 1, v1
	v_and_b32_e32 v5, 64, v1
	v_cmp_lt_i32_e64 s[2:3], v4, v5
	v_cndmask_b32_e64 v1, v4, v1, s[2:3]
	v_lshlrev_b32_e32 v1, 2, v1
	ds_bpermute_b32 v1, v1, v2
	s_waitcnt lgkmcnt(0)
	v_cndmask_b32_e64 v1, v1, v3, s[0:1]
	v_mul_f32_e32 v1, v27, v1
	v_cndmask_b32_e32 v1, v1, v27, vcc
	v_mul_f32_e32 v2, v28, v1
	v_mul_f32_e32 v3, v29, v2
	;; [unrolled: 1-line block ×14, first 2 shown]
	s_and_saveexec_b64 s[0:1], vcc
	s_cbranch_execz .LBB57_72
; %bb.71:
	v_mov_b32_e32 v18, 0
	ds_read_b32 v16, v18 offset:12
	v_mov_b32_e32 v17, 2
	s_waitcnt lgkmcnt(0)
	global_store_dwordx2 v18, v[16:17], s[12:13] offset:512
.LBB57_72:
	s_or_b64 exec, exec, s[0:1]
.LBB57_73:
	s_add_u32 s0, s26, s30
	s_addc_u32 s1, s27, s31
	s_mov_b64 s[2:3], -1
	s_and_b64 vcc, exec, s[28:29]
	s_waitcnt vmcnt(0) lgkmcnt(0)
	s_barrier
	s_cbranch_vccz .LBB57_75
; %bb.74:
	v_mov_b32_e32 v33, s1
	v_add_co_u32_e32 v34, vcc, s0, v31
	ds_write2_b32 v32, v1, v2 offset1:1
	ds_write2_b32 v32, v3, v4 offset0:2 offset1:3
	ds_write2_b32 v32, v5, v6 offset0:4 offset1:5
	;; [unrolled: 1-line block ×6, first 2 shown]
	ds_write_b32 v32, v15 offset:56
	s_waitcnt lgkmcnt(0)
	s_barrier
	ds_read2st64_b32 v[16:17], v31 offset1:4
	ds_read2st64_b32 v[18:19], v31 offset0:8 offset1:12
	ds_read2st64_b32 v[20:21], v31 offset0:16 offset1:20
	;; [unrolled: 1-line block ×6, first 2 shown]
	ds_read_b32 v30, v31 offset:14336
	v_addc_co_u32_e32 v33, vcc, 0, v33, vcc
	s_movk_i32 s2, 0x1000
	s_waitcnt lgkmcnt(7)
	global_store_dword v31, v16, s[0:1]
	global_store_dword v31, v17, s[0:1] offset:1024
	s_waitcnt lgkmcnt(6)
	global_store_dword v31, v18, s[0:1] offset:2048
	global_store_dword v31, v19, s[0:1] offset:3072
	v_add_co_u32_e32 v16, vcc, s2, v34
	v_addc_co_u32_e32 v17, vcc, 0, v33, vcc
	s_movk_i32 s2, 0x2000
	v_add_co_u32_e32 v18, vcc, s2, v34
	v_addc_co_u32_e32 v19, vcc, 0, v33, vcc
	s_waitcnt lgkmcnt(5)
	global_store_dword v[18:19], v20, off offset:-4096
	global_store_dword v[16:17], v21, off offset:1024
	s_waitcnt lgkmcnt(4)
	global_store_dword v[16:17], v22, off offset:2048
	global_store_dword v[16:17], v23, off offset:3072
	s_waitcnt lgkmcnt(3)
	global_store_dword v[18:19], v24, off
	global_store_dword v[18:19], v25, off offset:1024
	s_waitcnt lgkmcnt(2)
	global_store_dword v[18:19], v26, off offset:2048
	global_store_dword v[18:19], v27, off offset:3072
	v_add_co_u32_e32 v16, vcc, 0x3000, v34
	v_addc_co_u32_e32 v17, vcc, 0, v33, vcc
	s_waitcnt lgkmcnt(1)
	global_store_dword v[16:17], v28, off
	global_store_dword v[16:17], v29, off offset:1024
	s_waitcnt lgkmcnt(0)
	global_store_dword v[16:17], v30, off offset:2048
	s_mov_b64 s[2:3], 0
.LBB57_75:
	s_andn2_b64 vcc, exec, s[2:3]
	s_cbranch_vccnz .LBB57_161
; %bb.76:
	s_movk_i32 s2, 0xffc8
	v_mad_i32_i24 v16, v0, s2, v32
	ds_write2_b32 v32, v1, v2 offset1:1
	ds_write2_b32 v32, v3, v4 offset0:2 offset1:3
	ds_write2_b32 v32, v5, v6 offset0:4 offset1:5
	;; [unrolled: 1-line block ×6, first 2 shown]
	ds_write_b32 v32, v15 offset:56
	s_waitcnt vmcnt(0) lgkmcnt(0)
	s_barrier
	ds_read2st64_b32 v[4:5], v16 offset1:4
	ds_read2st64_b32 v[8:9], v16 offset0:8 offset1:12
	ds_read2st64_b32 v[6:7], v16 offset0:16 offset1:20
	;; [unrolled: 1-line block ×6, first 2 shown]
	ds_read_b32 v18, v16 offset:14336
	v_mov_b32_e32 v17, s1
	v_add_co_u32_e32 v16, vcc, s0, v31
	v_addc_co_u32_e32 v17, vcc, 0, v17, vcc
	v_mov_b32_e32 v1, 0
	v_cmp_gt_u32_e32 vcc, s7, v0
	s_and_saveexec_b64 s[0:1], vcc
	s_cbranch_execz .LBB57_78
; %bb.77:
	s_waitcnt lgkmcnt(7)
	global_store_dword v[16:17], v4, off
.LBB57_78:
	s_or_b64 exec, exec, s[0:1]
	v_or_b32_e32 v19, 0x100, v0
	v_cmp_gt_u32_e32 vcc, s7, v19
	s_and_saveexec_b64 s[0:1], vcc
	s_cbranch_execz .LBB57_80
; %bb.79:
	s_waitcnt lgkmcnt(7)
	global_store_dword v[16:17], v5, off offset:1024
.LBB57_80:
	s_or_b64 exec, exec, s[0:1]
	v_or_b32_e32 v19, 0x200, v0
	v_cmp_gt_u32_e32 vcc, s7, v19
	s_and_saveexec_b64 s[0:1], vcc
	s_cbranch_execz .LBB57_82
; %bb.81:
	s_waitcnt lgkmcnt(6)
	global_store_dword v[16:17], v8, off offset:2048
.LBB57_82:
	;; [unrolled: 9-line block ×3, first 2 shown]
	s_or_b64 exec, exec, s[0:1]
	v_or_b32_e32 v19, 0x400, v0
	v_cmp_gt_u32_e32 vcc, s7, v19
	s_and_saveexec_b64 s[0:1], vcc
	s_cbranch_execz .LBB57_86
; %bb.85:
	v_add_co_u32_e32 v19, vcc, 0x1000, v16
	v_addc_co_u32_e32 v20, vcc, 0, v17, vcc
	s_waitcnt lgkmcnt(5)
	global_store_dword v[19:20], v6, off
.LBB57_86:
	s_or_b64 exec, exec, s[0:1]
	v_or_b32_e32 v19, 0x500, v0
	v_cmp_gt_u32_e32 vcc, s7, v19
	s_and_saveexec_b64 s[0:1], vcc
	s_cbranch_execz .LBB57_88
; %bb.87:
	v_add_co_u32_e32 v19, vcc, 0x1000, v16
	v_addc_co_u32_e32 v20, vcc, 0, v17, vcc
	s_waitcnt lgkmcnt(5)
	global_store_dword v[19:20], v7, off offset:1024
.LBB57_88:
	s_or_b64 exec, exec, s[0:1]
	v_or_b32_e32 v19, 0x600, v0
	v_cmp_gt_u32_e32 vcc, s7, v19
	s_and_saveexec_b64 s[0:1], vcc
	s_cbranch_execz .LBB57_90
; %bb.89:
	v_add_co_u32_e32 v19, vcc, 0x1000, v16
	v_addc_co_u32_e32 v20, vcc, 0, v17, vcc
	s_waitcnt lgkmcnt(4)
	global_store_dword v[19:20], v14, off offset:2048
.LBB57_90:
	;; [unrolled: 11-line block ×3, first 2 shown]
	s_or_b64 exec, exec, s[0:1]
	v_or_b32_e32 v19, 0x800, v0
	v_cmp_gt_u32_e32 vcc, s7, v19
	s_and_saveexec_b64 s[0:1], vcc
	s_cbranch_execz .LBB57_94
; %bb.93:
	v_add_co_u32_e32 v19, vcc, 0x2000, v16
	v_addc_co_u32_e32 v20, vcc, 0, v17, vcc
	s_waitcnt lgkmcnt(3)
	global_store_dword v[19:20], v10, off
.LBB57_94:
	s_or_b64 exec, exec, s[0:1]
	v_or_b32_e32 v19, 0x900, v0
	v_cmp_gt_u32_e32 vcc, s7, v19
	s_and_saveexec_b64 s[0:1], vcc
	s_cbranch_execz .LBB57_96
; %bb.95:
	v_add_co_u32_e32 v19, vcc, 0x2000, v16
	v_addc_co_u32_e32 v20, vcc, 0, v17, vcc
	s_waitcnt lgkmcnt(3)
	global_store_dword v[19:20], v11, off offset:1024
.LBB57_96:
	s_or_b64 exec, exec, s[0:1]
	v_or_b32_e32 v19, 0xa00, v0
	v_cmp_gt_u32_e32 vcc, s7, v19
	s_and_saveexec_b64 s[0:1], vcc
	s_cbranch_execz .LBB57_98
; %bb.97:
	v_add_co_u32_e32 v19, vcc, 0x2000, v16
	v_addc_co_u32_e32 v20, vcc, 0, v17, vcc
	s_waitcnt lgkmcnt(2)
	global_store_dword v[19:20], v2, off offset:2048
.LBB57_98:
	;; [unrolled: 11-line block ×3, first 2 shown]
	s_or_b64 exec, exec, s[0:1]
	v_or_b32_e32 v19, 0xc00, v0
	v_cmp_gt_u32_e32 vcc, s7, v19
	s_and_saveexec_b64 s[0:1], vcc
	s_cbranch_execz .LBB57_102
; %bb.101:
	v_add_co_u32_e32 v19, vcc, 0x3000, v16
	v_addc_co_u32_e32 v20, vcc, 0, v17, vcc
	s_waitcnt lgkmcnt(1)
	global_store_dword v[19:20], v12, off
.LBB57_102:
	s_or_b64 exec, exec, s[0:1]
	v_or_b32_e32 v19, 0xd00, v0
	v_cmp_gt_u32_e32 vcc, s7, v19
	s_and_saveexec_b64 s[0:1], vcc
	s_cbranch_execz .LBB57_104
; %bb.103:
	v_add_co_u32_e32 v19, vcc, 0x3000, v16
	v_addc_co_u32_e32 v20, vcc, 0, v17, vcc
	s_waitcnt lgkmcnt(1)
	global_store_dword v[19:20], v13, off offset:1024
.LBB57_104:
	s_or_b64 exec, exec, s[0:1]
	v_or_b32_e32 v19, 0xe00, v0
	v_cmp_gt_u32_e32 vcc, s7, v19
	s_and_saveexec_b64 s[0:1], vcc
	s_cbranch_execz .LBB57_106
; %bb.105:
	v_add_co_u32_e32 v16, vcc, 0x3000, v16
	v_addc_co_u32_e32 v17, vcc, 0, v17, vcc
	s_waitcnt lgkmcnt(0)
	global_store_dword v[16:17], v18, off offset:2048
.LBB57_106:
	s_or_b64 exec, exec, s[0:1]
	s_load_dword s0, s[4:5], 0x40
	s_waitcnt lgkmcnt(0)
	s_bfe_u32 s0, s0, 0x10008
	s_cmp_eq_u32 s0, 0
	s_cbranch_scc1 .LBB57_161
; %bb.107:
	s_add_u32 s0, s7, -1
	s_addc_u32 s1, s23, -1
	s_mul_i32 s5, s1, 0x88888889
	s_mul_hi_u32 s6, s0, 0x88888889
	s_mul_hi_u32 s4, s1, 0x88888889
	s_add_u32 s5, s5, s6
	s_mul_i32 s3, s0, 0x88888888
	s_addc_u32 s4, s4, 0
	s_mul_hi_u32 s2, s0, 0x88888888
	s_add_u32 s3, s3, s5
	s_addc_u32 s2, s2, 0
	s_add_u32 s2, s4, s2
	s_addc_u32 s3, 0, 0
	s_mul_i32 s5, s1, 0x88888888
	s_mul_hi_u32 s4, s1, 0x88888888
	s_add_u32 s2, s5, s2
	s_addc_u32 s3, s4, s3
	s_lshr_b64 s[2:3], s[2:3], 3
	v_cmp_eq_u64_e32 vcc, s[2:3], v[0:1]
	s_and_saveexec_b64 s[2:3], vcc
	s_cbranch_execz .LBB57_161
; %bb.108:
	v_mul_hi_u32_u24_e32 v1, 15, v0
	v_mul_u32_u24_e32 v0, 15, v0
	v_mov_b32_e32 v16, s1
	v_sub_co_u32_e32 v0, vcc, s0, v0
	v_subb_co_u32_e32 v1, vcc, v16, v1, vcc
	v_cmp_lt_i64_e32 vcc, 7, v[0:1]
	s_and_saveexec_b64 s[0:1], vcc
	s_xor_b64 s[0:1], exec, s[0:1]
	s_cbranch_execz .LBB57_134
; %bb.109:
	v_cmp_lt_i64_e32 vcc, 10, v[0:1]
	s_and_saveexec_b64 s[2:3], vcc
	s_xor_b64 s[2:3], exec, s[2:3]
	s_cbranch_execz .LBB57_123
; %bb.110:
	;; [unrolled: 5-line block ×4, first 2 shown]
	v_mov_b32_e32 v0, 0
	global_store_dword v0, v18, s[10:11]
                                        ; implicit-def: $vgpr12_vgpr13
.LBB57_113:
	s_andn2_saveexec_b64 s[6:7], s[6:7]
	s_cbranch_execz .LBB57_115
; %bb.114:
	v_mov_b32_e32 v0, 0
	global_store_dword v0, v13, s[10:11]
.LBB57_115:
	s_or_b64 exec, exec, s[6:7]
                                        ; implicit-def: $vgpr2_vgpr3
                                        ; implicit-def: $vgpr0_vgpr1
                                        ; implicit-def: $vgpr12_vgpr13
.LBB57_116:
	s_andn2_saveexec_b64 s[4:5], s[4:5]
	s_cbranch_execz .LBB57_122
; %bb.117:
	v_cmp_lt_i64_e32 vcc, 11, v[0:1]
	s_and_saveexec_b64 s[6:7], vcc
	s_xor_b64 s[6:7], exec, s[6:7]
	s_cbranch_execz .LBB57_119
; %bb.118:
	v_mov_b32_e32 v0, 0
	global_store_dword v0, v12, s[10:11]
                                        ; implicit-def: $vgpr2_vgpr3
.LBB57_119:
	s_andn2_saveexec_b64 s[6:7], s[6:7]
	s_cbranch_execz .LBB57_121
; %bb.120:
	v_mov_b32_e32 v0, 0
	global_store_dword v0, v3, s[10:11]
.LBB57_121:
	s_or_b64 exec, exec, s[6:7]
.LBB57_122:
	s_or_b64 exec, exec, s[4:5]
                                        ; implicit-def: $vgpr10_vgpr11
                                        ; implicit-def: $vgpr0_vgpr1
                                        ; implicit-def: $vgpr2_vgpr3
.LBB57_123:
	s_andn2_saveexec_b64 s[2:3], s[2:3]
	s_cbranch_execz .LBB57_133
; %bb.124:
	v_cmp_lt_i64_e32 vcc, 8, v[0:1]
	s_and_saveexec_b64 s[4:5], vcc
	s_xor_b64 s[4:5], exec, s[4:5]
	s_cbranch_execz .LBB57_130
; %bb.125:
	v_cmp_lt_i64_e32 vcc, 9, v[0:1]
	s_and_saveexec_b64 s[6:7], vcc
	s_xor_b64 s[6:7], exec, s[6:7]
	s_cbranch_execz .LBB57_127
; %bb.126:
	v_mov_b32_e32 v0, 0
	global_store_dword v0, v2, s[10:11]
                                        ; implicit-def: $vgpr10_vgpr11
.LBB57_127:
	s_andn2_saveexec_b64 s[6:7], s[6:7]
	s_cbranch_execz .LBB57_129
; %bb.128:
	v_mov_b32_e32 v0, 0
	global_store_dword v0, v11, s[10:11]
.LBB57_129:
	s_or_b64 exec, exec, s[6:7]
                                        ; implicit-def: $vgpr10_vgpr11
.LBB57_130:
	s_andn2_saveexec_b64 s[4:5], s[4:5]
	s_cbranch_execz .LBB57_132
; %bb.131:
	v_mov_b32_e32 v0, 0
	global_store_dword v0, v10, s[10:11]
.LBB57_132:
	s_or_b64 exec, exec, s[4:5]
.LBB57_133:
	s_or_b64 exec, exec, s[2:3]
                                        ; implicit-def: $vgpr0_vgpr1
                                        ; implicit-def: $vgpr4_vgpr5
                                        ; implicit-def: $vgpr6_vgpr7
                                        ; implicit-def: $vgpr8_vgpr9
                                        ; implicit-def: $vgpr14_vgpr15
.LBB57_134:
	s_andn2_saveexec_b64 s[0:1], s[0:1]
	s_cbranch_execz .LBB57_161
; %bb.135:
	v_cmp_lt_i64_e32 vcc, 3, v[0:1]
	s_and_saveexec_b64 s[0:1], vcc
	s_xor_b64 s[0:1], exec, s[0:1]
	s_cbranch_execz .LBB57_149
; %bb.136:
	v_cmp_lt_i64_e32 vcc, 5, v[0:1]
	s_and_saveexec_b64 s[2:3], vcc
	s_xor_b64 s[2:3], exec, s[2:3]
	;; [unrolled: 5-line block ×3, first 2 shown]
	s_cbranch_execz .LBB57_139
; %bb.138:
	v_mov_b32_e32 v0, 0
	global_store_dword v0, v15, s[10:11]
                                        ; implicit-def: $vgpr14_vgpr15
.LBB57_139:
	s_andn2_saveexec_b64 s[4:5], s[4:5]
	s_cbranch_execz .LBB57_141
; %bb.140:
	v_mov_b32_e32 v0, 0
	global_store_dword v0, v14, s[10:11]
.LBB57_141:
	s_or_b64 exec, exec, s[4:5]
                                        ; implicit-def: $vgpr6_vgpr7
                                        ; implicit-def: $vgpr0_vgpr1
.LBB57_142:
	s_andn2_saveexec_b64 s[2:3], s[2:3]
	s_cbranch_execz .LBB57_148
; %bb.143:
	v_cmp_lt_i64_e32 vcc, 4, v[0:1]
	s_and_saveexec_b64 s[4:5], vcc
	s_xor_b64 s[4:5], exec, s[4:5]
	s_cbranch_execz .LBB57_145
; %bb.144:
	v_mov_b32_e32 v0, 0
	global_store_dword v0, v7, s[10:11]
                                        ; implicit-def: $vgpr6_vgpr7
.LBB57_145:
	s_andn2_saveexec_b64 s[4:5], s[4:5]
	s_cbranch_execz .LBB57_147
; %bb.146:
	v_mov_b32_e32 v0, 0
	global_store_dword v0, v6, s[10:11]
.LBB57_147:
	s_or_b64 exec, exec, s[4:5]
.LBB57_148:
	s_or_b64 exec, exec, s[2:3]
                                        ; implicit-def: $vgpr0_vgpr1
                                        ; implicit-def: $vgpr4_vgpr5
                                        ; implicit-def: $vgpr8_vgpr9
.LBB57_149:
	s_andn2_saveexec_b64 s[0:1], s[0:1]
	s_cbranch_execz .LBB57_161
; %bb.150:
	v_cmp_lt_i64_e32 vcc, 1, v[0:1]
	s_and_saveexec_b64 s[0:1], vcc
	s_xor_b64 s[0:1], exec, s[0:1]
	s_cbranch_execz .LBB57_156
; %bb.151:
	v_cmp_lt_i64_e32 vcc, 2, v[0:1]
	s_and_saveexec_b64 s[2:3], vcc
	s_xor_b64 s[2:3], exec, s[2:3]
	s_cbranch_execz .LBB57_153
; %bb.152:
	v_mov_b32_e32 v0, 0
	global_store_dword v0, v9, s[10:11]
                                        ; implicit-def: $vgpr8_vgpr9
.LBB57_153:
	s_andn2_saveexec_b64 s[2:3], s[2:3]
	s_cbranch_execz .LBB57_155
; %bb.154:
	v_mov_b32_e32 v0, 0
	global_store_dword v0, v8, s[10:11]
.LBB57_155:
	s_or_b64 exec, exec, s[2:3]
                                        ; implicit-def: $vgpr4_vgpr5
                                        ; implicit-def: $vgpr0_vgpr1
.LBB57_156:
	s_andn2_saveexec_b64 s[0:1], s[0:1]
	s_cbranch_execz .LBB57_161
; %bb.157:
	v_cmp_ne_u64_e32 vcc, 1, v[0:1]
	s_and_saveexec_b64 s[0:1], vcc
	s_xor_b64 s[0:1], exec, s[0:1]
	s_cbranch_execz .LBB57_159
; %bb.158:
	v_mov_b32_e32 v0, 0
	global_store_dword v0, v4, s[10:11]
                                        ; implicit-def: $vgpr4_vgpr5
.LBB57_159:
	s_andn2_saveexec_b64 s[0:1], s[0:1]
	s_cbranch_execz .LBB57_161
; %bb.160:
	v_mov_b32_e32 v0, 0
	global_store_dword v0, v5, s[10:11]
.LBB57_161:
	s_endpgm
	.section	.rodata,"a",@progbits
	.p2align	6, 0x0
	.amdhsa_kernel _ZN7rocprim17ROCPRIM_304000_NS6detail20lookback_scan_kernelILNS1_25lookback_scan_determinismE0ELb0ENS1_19wrapped_scan_configINS0_14default_configEfEEPKfPfSt10multipliesIfEffNS1_19lookback_scan_stateIfLb0ELb1EEEEEvT2_T3_mT5_T4_T7_jPT6_SK_bb
		.amdhsa_group_segment_fixed_size 15360
		.amdhsa_private_segment_fixed_size 0
		.amdhsa_kernarg_size 68
		.amdhsa_user_sgpr_count 6
		.amdhsa_user_sgpr_private_segment_buffer 1
		.amdhsa_user_sgpr_dispatch_ptr 0
		.amdhsa_user_sgpr_queue_ptr 0
		.amdhsa_user_sgpr_kernarg_segment_ptr 1
		.amdhsa_user_sgpr_dispatch_id 0
		.amdhsa_user_sgpr_flat_scratch_init 0
		.amdhsa_user_sgpr_private_segment_size 0
		.amdhsa_uses_dynamic_stack 0
		.amdhsa_system_sgpr_private_segment_wavefront_offset 0
		.amdhsa_system_sgpr_workgroup_id_x 1
		.amdhsa_system_sgpr_workgroup_id_y 0
		.amdhsa_system_sgpr_workgroup_id_z 0
		.amdhsa_system_sgpr_workgroup_info 0
		.amdhsa_system_vgpr_workitem_id 0
		.amdhsa_next_free_vgpr 49
		.amdhsa_next_free_sgpr 98
		.amdhsa_reserve_vcc 1
		.amdhsa_reserve_flat_scratch 0
		.amdhsa_float_round_mode_32 0
		.amdhsa_float_round_mode_16_64 0
		.amdhsa_float_denorm_mode_32 3
		.amdhsa_float_denorm_mode_16_64 3
		.amdhsa_dx10_clamp 1
		.amdhsa_ieee_mode 1
		.amdhsa_fp16_overflow 0
		.amdhsa_exception_fp_ieee_invalid_op 0
		.amdhsa_exception_fp_denorm_src 0
		.amdhsa_exception_fp_ieee_div_zero 0
		.amdhsa_exception_fp_ieee_overflow 0
		.amdhsa_exception_fp_ieee_underflow 0
		.amdhsa_exception_fp_ieee_inexact 0
		.amdhsa_exception_int_div_zero 0
	.end_amdhsa_kernel
	.section	.text._ZN7rocprim17ROCPRIM_304000_NS6detail20lookback_scan_kernelILNS1_25lookback_scan_determinismE0ELb0ENS1_19wrapped_scan_configINS0_14default_configEfEEPKfPfSt10multipliesIfEffNS1_19lookback_scan_stateIfLb0ELb1EEEEEvT2_T3_mT5_T4_T7_jPT6_SK_bb,"axG",@progbits,_ZN7rocprim17ROCPRIM_304000_NS6detail20lookback_scan_kernelILNS1_25lookback_scan_determinismE0ELb0ENS1_19wrapped_scan_configINS0_14default_configEfEEPKfPfSt10multipliesIfEffNS1_19lookback_scan_stateIfLb0ELb1EEEEEvT2_T3_mT5_T4_T7_jPT6_SK_bb,comdat
.Lfunc_end57:
	.size	_ZN7rocprim17ROCPRIM_304000_NS6detail20lookback_scan_kernelILNS1_25lookback_scan_determinismE0ELb0ENS1_19wrapped_scan_configINS0_14default_configEfEEPKfPfSt10multipliesIfEffNS1_19lookback_scan_stateIfLb0ELb1EEEEEvT2_T3_mT5_T4_T7_jPT6_SK_bb, .Lfunc_end57-_ZN7rocprim17ROCPRIM_304000_NS6detail20lookback_scan_kernelILNS1_25lookback_scan_determinismE0ELb0ENS1_19wrapped_scan_configINS0_14default_configEfEEPKfPfSt10multipliesIfEffNS1_19lookback_scan_stateIfLb0ELb1EEEEEvT2_T3_mT5_T4_T7_jPT6_SK_bb
                                        ; -- End function
	.set _ZN7rocprim17ROCPRIM_304000_NS6detail20lookback_scan_kernelILNS1_25lookback_scan_determinismE0ELb0ENS1_19wrapped_scan_configINS0_14default_configEfEEPKfPfSt10multipliesIfEffNS1_19lookback_scan_stateIfLb0ELb1EEEEEvT2_T3_mT5_T4_T7_jPT6_SK_bb.num_vgpr, 47
	.set _ZN7rocprim17ROCPRIM_304000_NS6detail20lookback_scan_kernelILNS1_25lookback_scan_determinismE0ELb0ENS1_19wrapped_scan_configINS0_14default_configEfEEPKfPfSt10multipliesIfEffNS1_19lookback_scan_stateIfLb0ELb1EEEEEvT2_T3_mT5_T4_T7_jPT6_SK_bb.num_agpr, 0
	.set _ZN7rocprim17ROCPRIM_304000_NS6detail20lookback_scan_kernelILNS1_25lookback_scan_determinismE0ELb0ENS1_19wrapped_scan_configINS0_14default_configEfEEPKfPfSt10multipliesIfEffNS1_19lookback_scan_stateIfLb0ELb1EEEEEvT2_T3_mT5_T4_T7_jPT6_SK_bb.numbered_sgpr, 32
	.set _ZN7rocprim17ROCPRIM_304000_NS6detail20lookback_scan_kernelILNS1_25lookback_scan_determinismE0ELb0ENS1_19wrapped_scan_configINS0_14default_configEfEEPKfPfSt10multipliesIfEffNS1_19lookback_scan_stateIfLb0ELb1EEEEEvT2_T3_mT5_T4_T7_jPT6_SK_bb.num_named_barrier, 0
	.set _ZN7rocprim17ROCPRIM_304000_NS6detail20lookback_scan_kernelILNS1_25lookback_scan_determinismE0ELb0ENS1_19wrapped_scan_configINS0_14default_configEfEEPKfPfSt10multipliesIfEffNS1_19lookback_scan_stateIfLb0ELb1EEEEEvT2_T3_mT5_T4_T7_jPT6_SK_bb.private_seg_size, 0
	.set _ZN7rocprim17ROCPRIM_304000_NS6detail20lookback_scan_kernelILNS1_25lookback_scan_determinismE0ELb0ENS1_19wrapped_scan_configINS0_14default_configEfEEPKfPfSt10multipliesIfEffNS1_19lookback_scan_stateIfLb0ELb1EEEEEvT2_T3_mT5_T4_T7_jPT6_SK_bb.uses_vcc, 1
	.set _ZN7rocprim17ROCPRIM_304000_NS6detail20lookback_scan_kernelILNS1_25lookback_scan_determinismE0ELb0ENS1_19wrapped_scan_configINS0_14default_configEfEEPKfPfSt10multipliesIfEffNS1_19lookback_scan_stateIfLb0ELb1EEEEEvT2_T3_mT5_T4_T7_jPT6_SK_bb.uses_flat_scratch, 0
	.set _ZN7rocprim17ROCPRIM_304000_NS6detail20lookback_scan_kernelILNS1_25lookback_scan_determinismE0ELb0ENS1_19wrapped_scan_configINS0_14default_configEfEEPKfPfSt10multipliesIfEffNS1_19lookback_scan_stateIfLb0ELb1EEEEEvT2_T3_mT5_T4_T7_jPT6_SK_bb.has_dyn_sized_stack, 0
	.set _ZN7rocprim17ROCPRIM_304000_NS6detail20lookback_scan_kernelILNS1_25lookback_scan_determinismE0ELb0ENS1_19wrapped_scan_configINS0_14default_configEfEEPKfPfSt10multipliesIfEffNS1_19lookback_scan_stateIfLb0ELb1EEEEEvT2_T3_mT5_T4_T7_jPT6_SK_bb.has_recursion, 0
	.set _ZN7rocprim17ROCPRIM_304000_NS6detail20lookback_scan_kernelILNS1_25lookback_scan_determinismE0ELb0ENS1_19wrapped_scan_configINS0_14default_configEfEEPKfPfSt10multipliesIfEffNS1_19lookback_scan_stateIfLb0ELb1EEEEEvT2_T3_mT5_T4_T7_jPT6_SK_bb.has_indirect_call, 0
	.section	.AMDGPU.csdata,"",@progbits
; Kernel info:
; codeLenInByte = 5440
; TotalNumSgprs: 36
; NumVgprs: 47
; ScratchSize: 0
; MemoryBound: 0
; FloatMode: 240
; IeeeMode: 1
; LDSByteSize: 15360 bytes/workgroup (compile time only)
; SGPRBlocks: 12
; VGPRBlocks: 12
; NumSGPRsForWavesPerEU: 102
; NumVGPRsForWavesPerEU: 49
; Occupancy: 4
; WaveLimiterHint : 1
; COMPUTE_PGM_RSRC2:SCRATCH_EN: 0
; COMPUTE_PGM_RSRC2:USER_SGPR: 6
; COMPUTE_PGM_RSRC2:TRAP_HANDLER: 0
; COMPUTE_PGM_RSRC2:TGID_X_EN: 1
; COMPUTE_PGM_RSRC2:TGID_Y_EN: 0
; COMPUTE_PGM_RSRC2:TGID_Z_EN: 0
; COMPUTE_PGM_RSRC2:TIDIG_COMP_CNT: 0
	.section	.text._ZN7rocprim17ROCPRIM_304000_NS6detail16transform_kernelINS1_24wrapped_transform_configINS0_14default_configEfEEfPfS6_NS0_8identityIfEEEEvT1_mT2_T3_,"axG",@progbits,_ZN7rocprim17ROCPRIM_304000_NS6detail16transform_kernelINS1_24wrapped_transform_configINS0_14default_configEfEEfPfS6_NS0_8identityIfEEEEvT1_mT2_T3_,comdat
	.protected	_ZN7rocprim17ROCPRIM_304000_NS6detail16transform_kernelINS1_24wrapped_transform_configINS0_14default_configEfEEfPfS6_NS0_8identityIfEEEEvT1_mT2_T3_ ; -- Begin function _ZN7rocprim17ROCPRIM_304000_NS6detail16transform_kernelINS1_24wrapped_transform_configINS0_14default_configEfEEfPfS6_NS0_8identityIfEEEEvT1_mT2_T3_
	.globl	_ZN7rocprim17ROCPRIM_304000_NS6detail16transform_kernelINS1_24wrapped_transform_configINS0_14default_configEfEEfPfS6_NS0_8identityIfEEEEvT1_mT2_T3_
	.p2align	8
	.type	_ZN7rocprim17ROCPRIM_304000_NS6detail16transform_kernelINS1_24wrapped_transform_configINS0_14default_configEfEEfPfS6_NS0_8identityIfEEEEvT1_mT2_T3_,@function
_ZN7rocprim17ROCPRIM_304000_NS6detail16transform_kernelINS1_24wrapped_transform_configINS0_14default_configEfEEfPfS6_NS0_8identityIfEEEEvT1_mT2_T3_: ; @_ZN7rocprim17ROCPRIM_304000_NS6detail16transform_kernelINS1_24wrapped_transform_configINS0_14default_configEfEEfPfS6_NS0_8identityIfEEEEvT1_mT2_T3_
; %bb.0:
	s_load_dword s7, s[4:5], 0x20
	s_load_dwordx4 s[0:3], s[4:5], 0x0
	s_load_dwordx2 s[8:9], s[4:5], 0x10
	s_lshl_b32 s10, s6, 11
	s_mov_b32 s11, 0
	s_waitcnt lgkmcnt(0)
	s_add_i32 s7, s7, -1
	s_lshl_b64 s[4:5], s[10:11], 2
	s_add_u32 s0, s0, s4
	s_addc_u32 s1, s1, s5
	v_lshlrev_b32_e32 v5, 2, v0
	v_mov_b32_e32 v2, s1
	v_add_co_u32_e32 v1, vcc, s0, v5
	s_cmp_lg_u32 s6, s7
	v_addc_co_u32_e32 v2, vcc, 0, v2, vcc
	s_cbranch_scc0 .LBB58_2
; %bb.1:
	v_add_co_u32_e32 v3, vcc, 0x1000, v1
	global_load_dword v6, v[1:2], off
	v_addc_co_u32_e32 v4, vcc, 0, v2, vcc
	global_load_dword v3, v[3:4], off
	s_add_u32 s0, s8, s4
	s_addc_u32 s1, s9, s5
	s_mov_b64 s[6:7], -1
	s_waitcnt vmcnt(1)
	global_store_dword v5, v6, s[0:1]
	s_cbranch_execz .LBB58_3
	s_branch .LBB58_10
.LBB58_2:
	s_mov_b64 s[6:7], 0
                                        ; implicit-def: $vgpr3
.LBB58_3:
	s_sub_i32 s10, s2, s10
	s_waitcnt vmcnt(1)
	v_mov_b32_e32 v3, 0
	v_cmp_gt_u32_e64 s[0:1], s10, v0
	v_mov_b32_e32 v4, v3
	s_and_saveexec_b64 s[2:3], s[0:1]
	s_cbranch_execz .LBB58_5
; %bb.4:
	global_load_dword v6, v[1:2], off
	v_mov_b32_e32 v7, v3
	s_waitcnt vmcnt(0)
	v_mov_b32_e32 v3, v6
	v_mov_b32_e32 v4, v7
.LBB58_5:
	s_or_b64 exec, exec, s[2:3]
	v_or_b32_e32 v0, 0x400, v0
	v_cmp_gt_u32_e64 s[2:3], s10, v0
	s_and_saveexec_b64 s[10:11], s[2:3]
	s_cbranch_execnz .LBB58_13
; %bb.6:
	s_or_b64 exec, exec, s[10:11]
	v_cndmask_b32_e64 v0, 0, v3, s[0:1]
	s_and_saveexec_b64 s[10:11], s[0:1]
	s_cbranch_execnz .LBB58_14
.LBB58_7:
	s_or_b64 exec, exec, s[10:11]
                                        ; implicit-def: $vgpr3
	s_and_saveexec_b64 s[0:1], s[2:3]
	s_cbranch_execz .LBB58_9
.LBB58_8:
	s_waitcnt vmcnt(0)
	v_cndmask_b32_e64 v3, 0, v4, s[2:3]
	s_or_b64 s[6:7], s[6:7], exec
.LBB58_9:
	s_or_b64 exec, exec, s[0:1]
.LBB58_10:
	s_and_saveexec_b64 s[0:1], s[6:7]
	s_cbranch_execnz .LBB58_12
; %bb.11:
	s_endpgm
.LBB58_12:
	s_add_u32 s0, s8, s4
	s_addc_u32 s1, s9, s5
	v_mov_b32_e32 v0, s1
	v_add_co_u32_e32 v1, vcc, s0, v5
	v_addc_co_u32_e32 v2, vcc, 0, v0, vcc
	v_add_co_u32_e32 v0, vcc, 0x1000, v1
	v_addc_co_u32_e32 v1, vcc, 0, v2, vcc
	s_waitcnt vmcnt(1)
	global_store_dword v[0:1], v3, off
	s_endpgm
.LBB58_13:
	v_add_co_u32_e32 v0, vcc, 0x1000, v1
	v_addc_co_u32_e32 v1, vcc, 0, v2, vcc
	global_load_dword v4, v[0:1], off
	s_or_b64 exec, exec, s[10:11]
	v_cndmask_b32_e64 v0, 0, v3, s[0:1]
	s_and_saveexec_b64 s[10:11], s[0:1]
	s_cbranch_execz .LBB58_7
.LBB58_14:
	s_add_u32 s0, s8, s4
	s_addc_u32 s1, s9, s5
	global_store_dword v5, v0, s[0:1]
	s_or_b64 exec, exec, s[10:11]
                                        ; implicit-def: $vgpr3
	s_and_saveexec_b64 s[0:1], s[2:3]
	s_cbranch_execnz .LBB58_8
	s_branch .LBB58_9
	.section	.rodata,"a",@progbits
	.p2align	6, 0x0
	.amdhsa_kernel _ZN7rocprim17ROCPRIM_304000_NS6detail16transform_kernelINS1_24wrapped_transform_configINS0_14default_configEfEEfPfS6_NS0_8identityIfEEEEvT1_mT2_T3_
		.amdhsa_group_segment_fixed_size 0
		.amdhsa_private_segment_fixed_size 0
		.amdhsa_kernarg_size 288
		.amdhsa_user_sgpr_count 6
		.amdhsa_user_sgpr_private_segment_buffer 1
		.amdhsa_user_sgpr_dispatch_ptr 0
		.amdhsa_user_sgpr_queue_ptr 0
		.amdhsa_user_sgpr_kernarg_segment_ptr 1
		.amdhsa_user_sgpr_dispatch_id 0
		.amdhsa_user_sgpr_flat_scratch_init 0
		.amdhsa_user_sgpr_private_segment_size 0
		.amdhsa_uses_dynamic_stack 0
		.amdhsa_system_sgpr_private_segment_wavefront_offset 0
		.amdhsa_system_sgpr_workgroup_id_x 1
		.amdhsa_system_sgpr_workgroup_id_y 0
		.amdhsa_system_sgpr_workgroup_id_z 0
		.amdhsa_system_sgpr_workgroup_info 0
		.amdhsa_system_vgpr_workitem_id 0
		.amdhsa_next_free_vgpr 8
		.amdhsa_next_free_sgpr 12
		.amdhsa_reserve_vcc 1
		.amdhsa_reserve_flat_scratch 0
		.amdhsa_float_round_mode_32 0
		.amdhsa_float_round_mode_16_64 0
		.amdhsa_float_denorm_mode_32 3
		.amdhsa_float_denorm_mode_16_64 3
		.amdhsa_dx10_clamp 1
		.amdhsa_ieee_mode 1
		.amdhsa_fp16_overflow 0
		.amdhsa_exception_fp_ieee_invalid_op 0
		.amdhsa_exception_fp_denorm_src 0
		.amdhsa_exception_fp_ieee_div_zero 0
		.amdhsa_exception_fp_ieee_overflow 0
		.amdhsa_exception_fp_ieee_underflow 0
		.amdhsa_exception_fp_ieee_inexact 0
		.amdhsa_exception_int_div_zero 0
	.end_amdhsa_kernel
	.section	.text._ZN7rocprim17ROCPRIM_304000_NS6detail16transform_kernelINS1_24wrapped_transform_configINS0_14default_configEfEEfPfS6_NS0_8identityIfEEEEvT1_mT2_T3_,"axG",@progbits,_ZN7rocprim17ROCPRIM_304000_NS6detail16transform_kernelINS1_24wrapped_transform_configINS0_14default_configEfEEfPfS6_NS0_8identityIfEEEEvT1_mT2_T3_,comdat
.Lfunc_end58:
	.size	_ZN7rocprim17ROCPRIM_304000_NS6detail16transform_kernelINS1_24wrapped_transform_configINS0_14default_configEfEEfPfS6_NS0_8identityIfEEEEvT1_mT2_T3_, .Lfunc_end58-_ZN7rocprim17ROCPRIM_304000_NS6detail16transform_kernelINS1_24wrapped_transform_configINS0_14default_configEfEEfPfS6_NS0_8identityIfEEEEvT1_mT2_T3_
                                        ; -- End function
	.set _ZN7rocprim17ROCPRIM_304000_NS6detail16transform_kernelINS1_24wrapped_transform_configINS0_14default_configEfEEfPfS6_NS0_8identityIfEEEEvT1_mT2_T3_.num_vgpr, 8
	.set _ZN7rocprim17ROCPRIM_304000_NS6detail16transform_kernelINS1_24wrapped_transform_configINS0_14default_configEfEEfPfS6_NS0_8identityIfEEEEvT1_mT2_T3_.num_agpr, 0
	.set _ZN7rocprim17ROCPRIM_304000_NS6detail16transform_kernelINS1_24wrapped_transform_configINS0_14default_configEfEEfPfS6_NS0_8identityIfEEEEvT1_mT2_T3_.numbered_sgpr, 12
	.set _ZN7rocprim17ROCPRIM_304000_NS6detail16transform_kernelINS1_24wrapped_transform_configINS0_14default_configEfEEfPfS6_NS0_8identityIfEEEEvT1_mT2_T3_.num_named_barrier, 0
	.set _ZN7rocprim17ROCPRIM_304000_NS6detail16transform_kernelINS1_24wrapped_transform_configINS0_14default_configEfEEfPfS6_NS0_8identityIfEEEEvT1_mT2_T3_.private_seg_size, 0
	.set _ZN7rocprim17ROCPRIM_304000_NS6detail16transform_kernelINS1_24wrapped_transform_configINS0_14default_configEfEEfPfS6_NS0_8identityIfEEEEvT1_mT2_T3_.uses_vcc, 1
	.set _ZN7rocprim17ROCPRIM_304000_NS6detail16transform_kernelINS1_24wrapped_transform_configINS0_14default_configEfEEfPfS6_NS0_8identityIfEEEEvT1_mT2_T3_.uses_flat_scratch, 0
	.set _ZN7rocprim17ROCPRIM_304000_NS6detail16transform_kernelINS1_24wrapped_transform_configINS0_14default_configEfEEfPfS6_NS0_8identityIfEEEEvT1_mT2_T3_.has_dyn_sized_stack, 0
	.set _ZN7rocprim17ROCPRIM_304000_NS6detail16transform_kernelINS1_24wrapped_transform_configINS0_14default_configEfEEfPfS6_NS0_8identityIfEEEEvT1_mT2_T3_.has_recursion, 0
	.set _ZN7rocprim17ROCPRIM_304000_NS6detail16transform_kernelINS1_24wrapped_transform_configINS0_14default_configEfEEfPfS6_NS0_8identityIfEEEEvT1_mT2_T3_.has_indirect_call, 0
	.section	.AMDGPU.csdata,"",@progbits
; Kernel info:
; codeLenInByte = 408
; TotalNumSgprs: 16
; NumVgprs: 8
; ScratchSize: 0
; MemoryBound: 0
; FloatMode: 240
; IeeeMode: 1
; LDSByteSize: 0 bytes/workgroup (compile time only)
; SGPRBlocks: 1
; VGPRBlocks: 1
; NumSGPRsForWavesPerEU: 16
; NumVGPRsForWavesPerEU: 8
; Occupancy: 10
; WaveLimiterHint : 1
; COMPUTE_PGM_RSRC2:SCRATCH_EN: 0
; COMPUTE_PGM_RSRC2:USER_SGPR: 6
; COMPUTE_PGM_RSRC2:TRAP_HANDLER: 0
; COMPUTE_PGM_RSRC2:TGID_X_EN: 1
; COMPUTE_PGM_RSRC2:TGID_Y_EN: 0
; COMPUTE_PGM_RSRC2:TGID_Z_EN: 0
; COMPUTE_PGM_RSRC2:TIDIG_COMP_CNT: 0
	.section	.text._ZN7rocprim17ROCPRIM_304000_NS6detail18single_scan_kernelILb0ENS1_19wrapped_scan_configINS0_14default_configEfEEPKfPfSt10multipliesIfEffEEvT1_mT4_T2_T3_,"axG",@progbits,_ZN7rocprim17ROCPRIM_304000_NS6detail18single_scan_kernelILb0ENS1_19wrapped_scan_configINS0_14default_configEfEEPKfPfSt10multipliesIfEffEEvT1_mT4_T2_T3_,comdat
	.protected	_ZN7rocprim17ROCPRIM_304000_NS6detail18single_scan_kernelILb0ENS1_19wrapped_scan_configINS0_14default_configEfEEPKfPfSt10multipliesIfEffEEvT1_mT4_T2_T3_ ; -- Begin function _ZN7rocprim17ROCPRIM_304000_NS6detail18single_scan_kernelILb0ENS1_19wrapped_scan_configINS0_14default_configEfEEPKfPfSt10multipliesIfEffEEvT1_mT4_T2_T3_
	.globl	_ZN7rocprim17ROCPRIM_304000_NS6detail18single_scan_kernelILb0ENS1_19wrapped_scan_configINS0_14default_configEfEEPKfPfSt10multipliesIfEffEEvT1_mT4_T2_T3_
	.p2align	8
	.type	_ZN7rocprim17ROCPRIM_304000_NS6detail18single_scan_kernelILb0ENS1_19wrapped_scan_configINS0_14default_configEfEEPKfPfSt10multipliesIfEffEEvT1_mT4_T2_T3_,@function
_ZN7rocprim17ROCPRIM_304000_NS6detail18single_scan_kernelILb0ENS1_19wrapped_scan_configINS0_14default_configEfEEPKfPfSt10multipliesIfEffEEvT1_mT4_T2_T3_: ; @_ZN7rocprim17ROCPRIM_304000_NS6detail18single_scan_kernelILb0ENS1_19wrapped_scan_configINS0_14default_configEfEEPKfPfSt10multipliesIfEffEEvT1_mT4_T2_T3_
; %bb.0:
	s_load_dwordx4 s[28:31], s[4:5], 0x0
	v_lshlrev_b32_e32 v19, 2, v0
	s_waitcnt lgkmcnt(0)
	s_load_dword s8, s[28:29], 0x0
	v_mov_b32_e32 v1, s29
	v_add_co_u32_e32 v17, vcc, s28, v19
	v_addc_co_u32_e32 v18, vcc, 0, v1, vcc
	s_waitcnt lgkmcnt(0)
	s_mov_b32 s9, s8
	s_mov_b32 s10, s8
	;; [unrolled: 1-line block ×14, first 2 shown]
	v_mov_b32_e32 v1, s8
	v_cmp_gt_u32_e64 s[0:1], s30, v0
	v_mov_b32_e32 v2, s9
	v_mov_b32_e32 v3, s10
	;; [unrolled: 1-line block ×15, first 2 shown]
	s_and_saveexec_b64 s[2:3], s[0:1]
	s_cbranch_execz .LBB59_2
; %bb.1:
	global_load_dword v1, v[17:18], off
	v_mov_b32_e32 v2, s8
	v_mov_b32_e32 v3, s8
	v_mov_b32_e32 v4, s8
	v_mov_b32_e32 v5, s8
	v_mov_b32_e32 v6, s8
	v_mov_b32_e32 v7, s8
	v_mov_b32_e32 v8, s8
	v_mov_b32_e32 v9, s8
	v_mov_b32_e32 v10, s8
	v_mov_b32_e32 v11, s8
	v_mov_b32_e32 v12, s8
	v_mov_b32_e32 v13, s8
	v_mov_b32_e32 v14, s8
	v_mov_b32_e32 v15, s8
.LBB59_2:
	s_or_b64 exec, exec, s[2:3]
	v_or_b32_e32 v16, 0x100, v0
	v_cmp_gt_u32_e64 s[2:3], s30, v16
	s_and_saveexec_b64 s[6:7], s[2:3]
	s_cbranch_execz .LBB59_4
; %bb.3:
	global_load_dword v2, v[17:18], off offset:1024
.LBB59_4:
	s_or_b64 exec, exec, s[6:7]
	v_or_b32_e32 v16, 0x200, v0
	v_cmp_gt_u32_e64 s[6:7], s30, v16
	s_and_saveexec_b64 s[8:9], s[6:7]
	s_cbranch_execz .LBB59_6
; %bb.5:
	global_load_dword v3, v[17:18], off offset:2048
.LBB59_6:
	;; [unrolled: 8-line block ×3, first 2 shown]
	s_or_b64 exec, exec, s[10:11]
	v_or_b32_e32 v16, 0x400, v0
	v_cmp_gt_u32_e64 s[10:11], s30, v16
	s_and_saveexec_b64 s[12:13], s[10:11]
	s_cbranch_execz .LBB59_10
; %bb.9:
	v_add_co_u32_e32 v20, vcc, 0x1000, v17
	v_addc_co_u32_e32 v21, vcc, 0, v18, vcc
	global_load_dword v5, v[20:21], off
.LBB59_10:
	s_or_b64 exec, exec, s[12:13]
	v_or_b32_e32 v16, 0x500, v0
	v_cmp_gt_u32_e64 s[12:13], s30, v16
	s_and_saveexec_b64 s[14:15], s[12:13]
	s_cbranch_execz .LBB59_12
; %bb.11:
	v_add_co_u32_e32 v20, vcc, 0x1000, v17
	v_addc_co_u32_e32 v21, vcc, 0, v18, vcc
	global_load_dword v6, v[20:21], off offset:1024
.LBB59_12:
	s_or_b64 exec, exec, s[14:15]
	v_or_b32_e32 v16, 0x600, v0
	v_cmp_gt_u32_e64 s[14:15], s30, v16
	s_and_saveexec_b64 s[16:17], s[14:15]
	s_cbranch_execz .LBB59_14
; %bb.13:
	v_add_co_u32_e32 v20, vcc, 0x1000, v17
	v_addc_co_u32_e32 v21, vcc, 0, v18, vcc
	global_load_dword v7, v[20:21], off offset:2048
.LBB59_14:
	;; [unrolled: 10-line block ×3, first 2 shown]
	s_or_b64 exec, exec, s[18:19]
	v_or_b32_e32 v16, 0x800, v0
	v_cmp_gt_u32_e64 s[18:19], s30, v16
	s_and_saveexec_b64 s[20:21], s[18:19]
	s_cbranch_execz .LBB59_18
; %bb.17:
	v_add_co_u32_e32 v20, vcc, 0x2000, v17
	v_addc_co_u32_e32 v21, vcc, 0, v18, vcc
	global_load_dword v9, v[20:21], off
.LBB59_18:
	s_or_b64 exec, exec, s[20:21]
	v_or_b32_e32 v16, 0x900, v0
	v_cmp_gt_u32_e64 s[20:21], s30, v16
	s_and_saveexec_b64 s[22:23], s[20:21]
	s_cbranch_execz .LBB59_20
; %bb.19:
	v_add_co_u32_e32 v20, vcc, 0x2000, v17
	v_addc_co_u32_e32 v21, vcc, 0, v18, vcc
	global_load_dword v10, v[20:21], off offset:1024
.LBB59_20:
	s_or_b64 exec, exec, s[22:23]
	v_or_b32_e32 v16, 0xa00, v0
	v_cmp_gt_u32_e64 s[22:23], s30, v16
	s_and_saveexec_b64 s[24:25], s[22:23]
	s_cbranch_execz .LBB59_22
; %bb.21:
	v_add_co_u32_e32 v20, vcc, 0x2000, v17
	v_addc_co_u32_e32 v21, vcc, 0, v18, vcc
	global_load_dword v11, v[20:21], off offset:2048
.LBB59_22:
	;; [unrolled: 10-line block ×3, first 2 shown]
	s_or_b64 exec, exec, s[26:27]
	v_or_b32_e32 v16, 0xc00, v0
	v_cmp_gt_u32_e64 s[26:27], s30, v16
	s_and_saveexec_b64 s[28:29], s[26:27]
	s_cbranch_execz .LBB59_26
; %bb.25:
	v_add_co_u32_e32 v20, vcc, 0x3000, v17
	v_addc_co_u32_e32 v21, vcc, 0, v18, vcc
	global_load_dword v13, v[20:21], off
.LBB59_26:
	s_or_b64 exec, exec, s[28:29]
	v_or_b32_e32 v16, 0xd00, v0
	v_cmp_gt_u32_e64 s[28:29], s30, v16
	s_and_saveexec_b64 s[34:35], s[28:29]
	s_cbranch_execz .LBB59_28
; %bb.27:
	v_add_co_u32_e32 v20, vcc, 0x3000, v17
	v_addc_co_u32_e32 v21, vcc, 0, v18, vcc
	global_load_dword v14, v[20:21], off offset:1024
.LBB59_28:
	s_or_b64 exec, exec, s[34:35]
	v_or_b32_e32 v16, 0xe00, v0
	v_cmp_gt_u32_e64 s[30:31], s30, v16
	s_and_saveexec_b64 s[34:35], s[30:31]
	s_cbranch_execz .LBB59_30
; %bb.29:
	v_add_co_u32_e32 v15, vcc, 0x3000, v17
	v_addc_co_u32_e32 v16, vcc, 0, v18, vcc
	global_load_dword v15, v[15:16], off offset:2048
.LBB59_30:
	s_or_b64 exec, exec, s[34:35]
	s_waitcnt vmcnt(0)
	ds_write2st64_b32 v19, v1, v2 offset1:4
	ds_write2st64_b32 v19, v3, v4 offset0:8 offset1:12
	ds_write2st64_b32 v19, v5, v6 offset0:16 offset1:20
	;; [unrolled: 1-line block ×6, first 2 shown]
	ds_write_b32 v19, v15 offset:14336
	v_mad_u32_u24 v15, v0, 56, v19
	s_waitcnt lgkmcnt(0)
	s_barrier
	ds_read2_b32 v[13:14], v15 offset1:1
	ds_read2_b32 v[11:12], v15 offset0:2 offset1:3
	ds_read2_b32 v[9:10], v15 offset0:4 offset1:5
	ds_read2_b32 v[7:8], v15 offset0:6 offset1:7
	ds_read2_b32 v[5:6], v15 offset0:8 offset1:9
	ds_read2_b32 v[3:4], v15 offset0:10 offset1:11
	ds_read2_b32 v[1:2], v15 offset0:12 offset1:13
	ds_read_b32 v15, v15 offset:56
	s_waitcnt lgkmcnt(7)
	v_mul_f32_e32 v16, v13, v14
	s_waitcnt lgkmcnt(6)
	v_mul_f32_e32 v16, v16, v11
	v_mul_f32_e32 v16, v16, v12
	s_waitcnt lgkmcnt(5)
	v_mul_f32_e32 v16, v16, v9
	v_mul_f32_e32 v16, v16, v10
	s_waitcnt lgkmcnt(4)
	v_mul_f32_e32 v16, v16, v7
	v_mul_f32_e32 v16, v16, v8
	s_waitcnt lgkmcnt(3)
	v_mul_f32_e32 v16, v16, v5
	v_mul_f32_e32 v16, v16, v6
	s_waitcnt lgkmcnt(2)
	v_mul_f32_e32 v16, v16, v3
	v_mul_f32_e32 v16, v16, v4
	s_waitcnt lgkmcnt(1)
	v_mul_f32_e32 v16, v16, v1
	v_mul_f32_e32 v16, v16, v2
	s_waitcnt lgkmcnt(0)
	v_mul_f32_e32 v17, v16, v15
	v_mbcnt_lo_u32_b32 v16, -1, 0
	v_mbcnt_hi_u32_b32 v16, -1, v16
	v_and_b32_e32 v18, 15, v16
	v_mov_b32_dpp v20, v17 row_shr:1 row_mask:0xf bank_mask:0xf
	v_mul_f32_e32 v20, v17, v20
	v_cmp_eq_u32_e32 vcc, 0, v18
	v_cndmask_b32_e32 v17, v20, v17, vcc
	v_cmp_lt_u32_e32 vcc, 1, v18
	s_nop 0
	v_mov_b32_dpp v20, v17 row_shr:2 row_mask:0xf bank_mask:0xf
	v_mul_f32_e32 v20, v17, v20
	v_cndmask_b32_e32 v17, v17, v20, vcc
	v_cmp_lt_u32_e32 vcc, 3, v18
	s_barrier
	v_mov_b32_dpp v20, v17 row_shr:4 row_mask:0xf bank_mask:0xf
	v_mul_f32_e32 v20, v17, v20
	v_cndmask_b32_e32 v17, v17, v20, vcc
	v_cmp_lt_u32_e32 vcc, 7, v18
	s_nop 0
	v_mov_b32_dpp v20, v17 row_shr:8 row_mask:0xf bank_mask:0xf
	v_mul_f32_e32 v20, v17, v20
	v_cndmask_b32_e32 v17, v17, v20, vcc
	v_and_b32_e32 v20, 16, v16
	v_cmp_eq_u32_e32 vcc, 0, v20
	v_mov_b32_dpp v18, v17 row_bcast:15 row_mask:0xf bank_mask:0xf
	v_mul_f32_e32 v18, v17, v18
	v_cndmask_b32_e32 v17, v18, v17, vcc
	v_cmp_lt_u32_e32 vcc, 31, v16
	v_lshrrev_b32_e32 v20, 6, v0
	v_mov_b32_dpp v18, v17 row_bcast:31 row_mask:0xf bank_mask:0xf
	v_mul_f32_e32 v18, v17, v18
	v_cndmask_b32_e32 v17, v17, v18, vcc
	v_or_b32_e32 v18, 63, v0
	v_cmp_eq_u32_e32 vcc, v0, v18
	s_and_saveexec_b64 s[34:35], vcc
; %bb.31:
	v_lshlrev_b32_e32 v18, 2, v20
	ds_write_b32 v18, v17
; %bb.32:
	s_or_b64 exec, exec, s[34:35]
	v_cmp_gt_u32_e32 vcc, 4, v0
	s_waitcnt lgkmcnt(0)
	s_barrier
	s_and_saveexec_b64 s[34:35], vcc
	s_cbranch_execz .LBB59_34
; %bb.33:
	ds_read_b32 v18, v19
	v_and_b32_e32 v21, 3, v16
	v_cmp_eq_u32_e32 vcc, 0, v21
	s_waitcnt lgkmcnt(0)
	v_mov_b32_dpp v22, v18 row_shr:1 row_mask:0xf bank_mask:0xf
	v_mul_f32_e32 v22, v18, v22
	v_cndmask_b32_e32 v18, v22, v18, vcc
	v_cmp_lt_u32_e32 vcc, 1, v21
	s_nop 0
	v_mov_b32_dpp v22, v18 row_shr:2 row_mask:0xf bank_mask:0xf
	v_mul_f32_e32 v22, v18, v22
	v_cndmask_b32_e32 v18, v18, v22, vcc
	ds_write_b32 v19, v18
.LBB59_34:
	s_or_b64 exec, exec, s[34:35]
	v_mul_u32_u24_e32 v18, 56, v0
	v_cmp_lt_u32_e32 vcc, 63, v0
	s_waitcnt lgkmcnt(0)
	s_barrier
                                        ; implicit-def: $vgpr21
	s_and_saveexec_b64 s[34:35], vcc
	s_cbranch_execz .LBB59_36
; %bb.35:
	v_lshl_add_u32 v20, v20, 2, -4
	ds_read_b32 v21, v20
	s_waitcnt lgkmcnt(0)
	v_mul_f32_e32 v17, v17, v21
.LBB59_36:
	s_or_b64 exec, exec, s[34:35]
	v_subrev_co_u32_e32 v20, vcc, 1, v16
	v_and_b32_e32 v22, 64, v16
	v_cmp_lt_i32_e64 s[34:35], v20, v22
	v_cndmask_b32_e64 v16, v20, v16, s[34:35]
	v_lshlrev_b32_e32 v16, 2, v16
	ds_bpermute_b32 v16, v16, v17
	s_waitcnt lgkmcnt(0)
	s_barrier
	s_load_dwordx2 s[4:5], s[4:5], 0x18
	v_cndmask_b32_e32 v16, v16, v21, vcc
	v_mul_f32_e32 v16, v13, v16
	v_cmp_eq_u32_e32 vcc, 0, v0
	v_cndmask_b32_e32 v0, v16, v13, vcc
	v_mul_f32_e32 v13, v14, v0
	v_mul_f32_e32 v11, v11, v13
	;; [unrolled: 1-line block ×14, first 2 shown]
	v_add_u32_e32 v15, v19, v18
	ds_write2_b32 v15, v0, v13 offset1:1
	ds_write2_b32 v15, v11, v12 offset0:2 offset1:3
	ds_write2_b32 v15, v9, v10 offset0:4 offset1:5
	;; [unrolled: 1-line block ×6, first 2 shown]
	ds_write_b32 v15, v14 offset:56
	s_waitcnt lgkmcnt(0)
	s_barrier
	ds_read2st64_b32 v[14:15], v19 offset0:4 offset1:8
	ds_read2st64_b32 v[12:13], v19 offset0:12 offset1:16
	;; [unrolled: 1-line block ×7, first 2 shown]
	v_mov_b32_e32 v3, s5
	v_add_co_u32_e32 v2, vcc, s4, v19
	v_addc_co_u32_e32 v3, vcc, 0, v3, vcc
	s_and_saveexec_b64 s[4:5], s[0:1]
	s_cbranch_execnz .LBB59_52
; %bb.37:
	s_or_b64 exec, exec, s[4:5]
	s_and_saveexec_b64 s[0:1], s[2:3]
	s_cbranch_execnz .LBB59_53
.LBB59_38:
	s_or_b64 exec, exec, s[0:1]
	s_and_saveexec_b64 s[0:1], s[6:7]
	s_cbranch_execnz .LBB59_54
.LBB59_39:
	s_or_b64 exec, exec, s[0:1]
	s_and_saveexec_b64 s[0:1], s[8:9]
	s_cbranch_execnz .LBB59_55
.LBB59_40:
	s_or_b64 exec, exec, s[0:1]
	s_and_saveexec_b64 s[0:1], s[10:11]
	s_cbranch_execnz .LBB59_56
.LBB59_41:
	s_or_b64 exec, exec, s[0:1]
	s_and_saveexec_b64 s[0:1], s[12:13]
	s_cbranch_execnz .LBB59_57
.LBB59_42:
	s_or_b64 exec, exec, s[0:1]
	s_and_saveexec_b64 s[0:1], s[14:15]
	s_cbranch_execnz .LBB59_58
.LBB59_43:
	s_or_b64 exec, exec, s[0:1]
	s_and_saveexec_b64 s[0:1], s[16:17]
	s_cbranch_execnz .LBB59_59
.LBB59_44:
	s_or_b64 exec, exec, s[0:1]
	s_and_saveexec_b64 s[0:1], s[18:19]
	s_cbranch_execnz .LBB59_60
.LBB59_45:
	s_or_b64 exec, exec, s[0:1]
	s_and_saveexec_b64 s[0:1], s[20:21]
	s_cbranch_execnz .LBB59_61
.LBB59_46:
	s_or_b64 exec, exec, s[0:1]
	s_and_saveexec_b64 s[0:1], s[22:23]
	s_cbranch_execnz .LBB59_62
.LBB59_47:
	s_or_b64 exec, exec, s[0:1]
	s_and_saveexec_b64 s[0:1], s[24:25]
	s_cbranch_execnz .LBB59_63
.LBB59_48:
	s_or_b64 exec, exec, s[0:1]
	s_and_saveexec_b64 s[0:1], s[26:27]
	s_cbranch_execnz .LBB59_64
.LBB59_49:
	s_or_b64 exec, exec, s[0:1]
	s_and_saveexec_b64 s[0:1], s[28:29]
	s_cbranch_execnz .LBB59_65
.LBB59_50:
	s_or_b64 exec, exec, s[0:1]
	s_and_saveexec_b64 s[0:1], s[30:31]
	s_cbranch_execnz .LBB59_66
.LBB59_51:
	s_endpgm
.LBB59_52:
	ds_read_b32 v16, v19
	s_waitcnt lgkmcnt(0)
	global_store_dword v[2:3], v16, off
	s_or_b64 exec, exec, s[4:5]
	s_and_saveexec_b64 s[0:1], s[2:3]
	s_cbranch_execz .LBB59_38
.LBB59_53:
	s_waitcnt lgkmcnt(6)
	global_store_dword v[2:3], v14, off offset:1024
	s_or_b64 exec, exec, s[0:1]
	s_and_saveexec_b64 s[0:1], s[6:7]
	s_cbranch_execz .LBB59_39
.LBB59_54:
	s_waitcnt lgkmcnt(6)
	global_store_dword v[2:3], v15, off offset:2048
	s_or_b64 exec, exec, s[0:1]
	s_and_saveexec_b64 s[0:1], s[8:9]
	s_cbranch_execz .LBB59_40
.LBB59_55:
	s_waitcnt lgkmcnt(5)
	global_store_dword v[2:3], v12, off offset:3072
	s_or_b64 exec, exec, s[0:1]
	s_and_saveexec_b64 s[0:1], s[10:11]
	s_cbranch_execz .LBB59_41
.LBB59_56:
	s_waitcnt lgkmcnt(6)
	v_add_co_u32_e32 v14, vcc, 0x1000, v2
	v_addc_co_u32_e32 v15, vcc, 0, v3, vcc
	s_waitcnt lgkmcnt(5)
	global_store_dword v[14:15], v13, off
	s_or_b64 exec, exec, s[0:1]
	s_and_saveexec_b64 s[0:1], s[12:13]
	s_cbranch_execz .LBB59_42
.LBB59_57:
	s_waitcnt lgkmcnt(5)
	v_add_co_u32_e32 v12, vcc, 0x1000, v2
	v_addc_co_u32_e32 v13, vcc, 0, v3, vcc
	s_waitcnt lgkmcnt(4)
	global_store_dword v[12:13], v10, off offset:1024
	s_or_b64 exec, exec, s[0:1]
	s_and_saveexec_b64 s[0:1], s[14:15]
	s_cbranch_execz .LBB59_43
.LBB59_58:
	s_waitcnt lgkmcnt(5)
	v_add_co_u32_e32 v12, vcc, 0x1000, v2
	v_addc_co_u32_e32 v13, vcc, 0, v3, vcc
	s_waitcnt lgkmcnt(4)
	global_store_dword v[12:13], v11, off offset:2048
	s_or_b64 exec, exec, s[0:1]
	s_and_saveexec_b64 s[0:1], s[16:17]
	s_cbranch_execz .LBB59_44
.LBB59_59:
	s_waitcnt lgkmcnt(4)
	v_add_co_u32_e32 v10, vcc, 0x1000, v2
	v_addc_co_u32_e32 v11, vcc, 0, v3, vcc
	s_waitcnt lgkmcnt(3)
	global_store_dword v[10:11], v8, off offset:3072
	s_or_b64 exec, exec, s[0:1]
	s_and_saveexec_b64 s[0:1], s[18:19]
	s_cbranch_execz .LBB59_45
.LBB59_60:
	s_waitcnt lgkmcnt(4)
	v_add_co_u32_e32 v10, vcc, 0x2000, v2
	v_addc_co_u32_e32 v11, vcc, 0, v3, vcc
	s_waitcnt lgkmcnt(3)
	global_store_dword v[10:11], v9, off
	s_or_b64 exec, exec, s[0:1]
	s_and_saveexec_b64 s[0:1], s[20:21]
	s_cbranch_execz .LBB59_46
.LBB59_61:
	s_waitcnt lgkmcnt(3)
	v_add_co_u32_e32 v8, vcc, 0x2000, v2
	v_addc_co_u32_e32 v9, vcc, 0, v3, vcc
	s_waitcnt lgkmcnt(2)
	global_store_dword v[8:9], v6, off offset:1024
	s_or_b64 exec, exec, s[0:1]
	s_and_saveexec_b64 s[0:1], s[22:23]
	s_cbranch_execz .LBB59_47
.LBB59_62:
	s_waitcnt lgkmcnt(3)
	v_add_co_u32_e32 v8, vcc, 0x2000, v2
	v_addc_co_u32_e32 v9, vcc, 0, v3, vcc
	s_waitcnt lgkmcnt(2)
	global_store_dword v[8:9], v7, off offset:2048
	s_or_b64 exec, exec, s[0:1]
	s_and_saveexec_b64 s[0:1], s[24:25]
	s_cbranch_execz .LBB59_48
.LBB59_63:
	s_waitcnt lgkmcnt(2)
	v_add_co_u32_e32 v6, vcc, 0x2000, v2
	v_addc_co_u32_e32 v7, vcc, 0, v3, vcc
	s_waitcnt lgkmcnt(1)
	global_store_dword v[6:7], v4, off offset:3072
	s_or_b64 exec, exec, s[0:1]
	s_and_saveexec_b64 s[0:1], s[26:27]
	s_cbranch_execz .LBB59_49
.LBB59_64:
	s_waitcnt lgkmcnt(2)
	v_add_co_u32_e32 v6, vcc, 0x3000, v2
	v_addc_co_u32_e32 v7, vcc, 0, v3, vcc
	s_waitcnt lgkmcnt(1)
	global_store_dword v[6:7], v5, off
	s_or_b64 exec, exec, s[0:1]
	s_and_saveexec_b64 s[0:1], s[28:29]
	s_cbranch_execz .LBB59_50
.LBB59_65:
	s_waitcnt lgkmcnt(1)
	v_add_co_u32_e32 v4, vcc, 0x3000, v2
	v_addc_co_u32_e32 v5, vcc, 0, v3, vcc
	s_waitcnt lgkmcnt(0)
	global_store_dword v[4:5], v0, off offset:1024
	s_or_b64 exec, exec, s[0:1]
	s_and_saveexec_b64 s[0:1], s[30:31]
	s_cbranch_execz .LBB59_51
.LBB59_66:
	v_add_co_u32_e32 v2, vcc, 0x3000, v2
	v_addc_co_u32_e32 v3, vcc, 0, v3, vcc
	s_waitcnt lgkmcnt(0)
	global_store_dword v[2:3], v1, off offset:2048
	s_endpgm
	.section	.rodata,"a",@progbits
	.p2align	6, 0x0
	.amdhsa_kernel _ZN7rocprim17ROCPRIM_304000_NS6detail18single_scan_kernelILb0ENS1_19wrapped_scan_configINS0_14default_configEfEEPKfPfSt10multipliesIfEffEEvT1_mT4_T2_T3_
		.amdhsa_group_segment_fixed_size 15360
		.amdhsa_private_segment_fixed_size 0
		.amdhsa_kernarg_size 36
		.amdhsa_user_sgpr_count 6
		.amdhsa_user_sgpr_private_segment_buffer 1
		.amdhsa_user_sgpr_dispatch_ptr 0
		.amdhsa_user_sgpr_queue_ptr 0
		.amdhsa_user_sgpr_kernarg_segment_ptr 1
		.amdhsa_user_sgpr_dispatch_id 0
		.amdhsa_user_sgpr_flat_scratch_init 0
		.amdhsa_user_sgpr_private_segment_size 0
		.amdhsa_uses_dynamic_stack 0
		.amdhsa_system_sgpr_private_segment_wavefront_offset 0
		.amdhsa_system_sgpr_workgroup_id_x 1
		.amdhsa_system_sgpr_workgroup_id_y 0
		.amdhsa_system_sgpr_workgroup_id_z 0
		.amdhsa_system_sgpr_workgroup_info 0
		.amdhsa_system_vgpr_workitem_id 0
		.amdhsa_next_free_vgpr 49
		.amdhsa_next_free_sgpr 98
		.amdhsa_reserve_vcc 1
		.amdhsa_reserve_flat_scratch 0
		.amdhsa_float_round_mode_32 0
		.amdhsa_float_round_mode_16_64 0
		.amdhsa_float_denorm_mode_32 3
		.amdhsa_float_denorm_mode_16_64 3
		.amdhsa_dx10_clamp 1
		.amdhsa_ieee_mode 1
		.amdhsa_fp16_overflow 0
		.amdhsa_exception_fp_ieee_invalid_op 0
		.amdhsa_exception_fp_denorm_src 0
		.amdhsa_exception_fp_ieee_div_zero 0
		.amdhsa_exception_fp_ieee_overflow 0
		.amdhsa_exception_fp_ieee_underflow 0
		.amdhsa_exception_fp_ieee_inexact 0
		.amdhsa_exception_int_div_zero 0
	.end_amdhsa_kernel
	.section	.text._ZN7rocprim17ROCPRIM_304000_NS6detail18single_scan_kernelILb0ENS1_19wrapped_scan_configINS0_14default_configEfEEPKfPfSt10multipliesIfEffEEvT1_mT4_T2_T3_,"axG",@progbits,_ZN7rocprim17ROCPRIM_304000_NS6detail18single_scan_kernelILb0ENS1_19wrapped_scan_configINS0_14default_configEfEEPKfPfSt10multipliesIfEffEEvT1_mT4_T2_T3_,comdat
.Lfunc_end59:
	.size	_ZN7rocprim17ROCPRIM_304000_NS6detail18single_scan_kernelILb0ENS1_19wrapped_scan_configINS0_14default_configEfEEPKfPfSt10multipliesIfEffEEvT1_mT4_T2_T3_, .Lfunc_end59-_ZN7rocprim17ROCPRIM_304000_NS6detail18single_scan_kernelILb0ENS1_19wrapped_scan_configINS0_14default_configEfEEPKfPfSt10multipliesIfEffEEvT1_mT4_T2_T3_
                                        ; -- End function
	.set _ZN7rocprim17ROCPRIM_304000_NS6detail18single_scan_kernelILb0ENS1_19wrapped_scan_configINS0_14default_configEfEEPKfPfSt10multipliesIfEffEEvT1_mT4_T2_T3_.num_vgpr, 23
	.set _ZN7rocprim17ROCPRIM_304000_NS6detail18single_scan_kernelILb0ENS1_19wrapped_scan_configINS0_14default_configEfEEPKfPfSt10multipliesIfEffEEvT1_mT4_T2_T3_.num_agpr, 0
	.set _ZN7rocprim17ROCPRIM_304000_NS6detail18single_scan_kernelILb0ENS1_19wrapped_scan_configINS0_14default_configEfEEPKfPfSt10multipliesIfEffEEvT1_mT4_T2_T3_.numbered_sgpr, 36
	.set _ZN7rocprim17ROCPRIM_304000_NS6detail18single_scan_kernelILb0ENS1_19wrapped_scan_configINS0_14default_configEfEEPKfPfSt10multipliesIfEffEEvT1_mT4_T2_T3_.num_named_barrier, 0
	.set _ZN7rocprim17ROCPRIM_304000_NS6detail18single_scan_kernelILb0ENS1_19wrapped_scan_configINS0_14default_configEfEEPKfPfSt10multipliesIfEffEEvT1_mT4_T2_T3_.private_seg_size, 0
	.set _ZN7rocprim17ROCPRIM_304000_NS6detail18single_scan_kernelILb0ENS1_19wrapped_scan_configINS0_14default_configEfEEPKfPfSt10multipliesIfEffEEvT1_mT4_T2_T3_.uses_vcc, 1
	.set _ZN7rocprim17ROCPRIM_304000_NS6detail18single_scan_kernelILb0ENS1_19wrapped_scan_configINS0_14default_configEfEEPKfPfSt10multipliesIfEffEEvT1_mT4_T2_T3_.uses_flat_scratch, 0
	.set _ZN7rocprim17ROCPRIM_304000_NS6detail18single_scan_kernelILb0ENS1_19wrapped_scan_configINS0_14default_configEfEEPKfPfSt10multipliesIfEffEEvT1_mT4_T2_T3_.has_dyn_sized_stack, 0
	.set _ZN7rocprim17ROCPRIM_304000_NS6detail18single_scan_kernelILb0ENS1_19wrapped_scan_configINS0_14default_configEfEEPKfPfSt10multipliesIfEffEEvT1_mT4_T2_T3_.has_recursion, 0
	.set _ZN7rocprim17ROCPRIM_304000_NS6detail18single_scan_kernelILb0ENS1_19wrapped_scan_configINS0_14default_configEfEEPKfPfSt10multipliesIfEffEEvT1_mT4_T2_T3_.has_indirect_call, 0
	.section	.AMDGPU.csdata,"",@progbits
; Kernel info:
; codeLenInByte = 2428
; TotalNumSgprs: 40
; NumVgprs: 23
; ScratchSize: 0
; MemoryBound: 0
; FloatMode: 240
; IeeeMode: 1
; LDSByteSize: 15360 bytes/workgroup (compile time only)
; SGPRBlocks: 12
; VGPRBlocks: 12
; NumSGPRsForWavesPerEU: 102
; NumVGPRsForWavesPerEU: 49
; Occupancy: 4
; WaveLimiterHint : 0
; COMPUTE_PGM_RSRC2:SCRATCH_EN: 0
; COMPUTE_PGM_RSRC2:USER_SGPR: 6
; COMPUTE_PGM_RSRC2:TRAP_HANDLER: 0
; COMPUTE_PGM_RSRC2:TGID_X_EN: 1
; COMPUTE_PGM_RSRC2:TGID_Y_EN: 0
; COMPUTE_PGM_RSRC2:TGID_Z_EN: 0
; COMPUTE_PGM_RSRC2:TIDIG_COMP_CNT: 0
	.section	.text._ZN2at6native32tensor_kernel_scan_innermost_dimIfSt10multipliesIfEEEvPT_PKS4_jjjS4_T0_,"axG",@progbits,_ZN2at6native32tensor_kernel_scan_innermost_dimIfSt10multipliesIfEEEvPT_PKS4_jjjS4_T0_,comdat
	.protected	_ZN2at6native32tensor_kernel_scan_innermost_dimIfSt10multipliesIfEEEvPT_PKS4_jjjS4_T0_ ; -- Begin function _ZN2at6native32tensor_kernel_scan_innermost_dimIfSt10multipliesIfEEEvPT_PKS4_jjjS4_T0_
	.globl	_ZN2at6native32tensor_kernel_scan_innermost_dimIfSt10multipliesIfEEEvPT_PKS4_jjjS4_T0_
	.p2align	8
	.type	_ZN2at6native32tensor_kernel_scan_innermost_dimIfSt10multipliesIfEEEvPT_PKS4_jjjS4_T0_,@function
_ZN2at6native32tensor_kernel_scan_innermost_dimIfSt10multipliesIfEEEvPT_PKS4_jjjS4_T0_: ; @_ZN2at6native32tensor_kernel_scan_innermost_dimIfSt10multipliesIfEEEvPT_PKS4_jjjS4_T0_
; %bb.0:
	s_load_dwordx8 s[12:19], s[4:5], 0x0
	v_mov_b32_e32 v2, v1
	s_waitcnt lgkmcnt(0)
	s_lshl_b32 s7, 2, s18
	v_mul_lo_u32 v1, s7, v2
	s_mul_hi_u32 s0, s16, s17
	s_cmp_lg_u32 s0, 0
	s_mov_b64 s[0:1], -1
	v_lshl_add_u32 v10, v1, 2, 0
	s_cbranch_scc1 .LBB60_26
; %bb.1:
	s_load_dword s2, s[4:5], 0x34
	s_add_u32 s0, s4, 40
	s_addc_u32 s1, s5, 0
	s_waitcnt lgkmcnt(0)
	s_lshr_b32 s2, s2, 16
	s_mul_i32 s24, s6, s2
	s_cmp_ge_u32 s24, s16
	s_cbranch_scc1 .LBB60_25
; %bb.2:
	s_load_dword s26, s[0:1], 0x0
	s_lshl_b32 s25, 1, s18
	s_cmp_lg_u32 s17, 0
	s_cselect_b64 s[8:9], -1, 0
	v_lshl_add_u32 v1, v0, 2, v10
	s_lshl_b32 s3, s7, 2
	v_cndmask_b32_e64 v3, 0, 1, s[8:9]
	v_lshl_add_u32 v7, s25, 2, v1
	v_cmp_eq_u32_e64 s[0:1], 0, v0
	v_add3_u32 v8, v10, s3, -4
	s_waitcnt lgkmcnt(0)
	s_mul_i32 s26, s26, s2
	s_add_i32 s27, s18, 1
	v_cmp_ne_u32_e64 s[2:3], 1, v3
	v_mov_b32_e32 v4, 0
	s_branch .LBB60_4
.LBB60_3:                               ;   in Loop: Header=BB60_4 Depth=1
	s_add_i32 s24, s24, s26
	s_cmp_ge_u32 s24, s16
	s_cbranch_scc1 .LBB60_25
.LBB60_4:                               ; =>This Loop Header: Depth=1
                                        ;     Child Loop BB60_7 Depth 2
                                        ;       Child Loop BB60_16 Depth 3
	s_and_b64 vcc, exec, s[2:3]
	s_cbranch_vccnz .LBB60_3
; %bb.5:                                ;   in Loop: Header=BB60_4 Depth=1
	v_add_u32_e32 v14, s24, v2
	v_mul_lo_u32 v3, v14, s17
	v_mov_b32_e32 v11, s15
	v_cmp_le_u32_e64 s[8:9], s16, v14
	s_mov_b32 s28, 0
	v_lshlrev_b64 v[5:6], 2, v[3:4]
	v_mov_b32_e32 v3, s13
	v_add_co_u32_e32 v9, vcc, s14, v5
	v_addc_co_u32_e32 v11, vcc, v11, v6, vcc
	v_add_co_u32_e32 v12, vcc, s12, v5
	v_addc_co_u32_e32 v13, vcc, v3, v6, vcc
	v_cmp_gt_u32_e32 vcc, s16, v14
	v_mov_b32_e32 v14, s19
	s_branch .LBB60_7
.LBB60_6:                               ;   in Loop: Header=BB60_7 Depth=2
	s_or_b64 exec, exec, s[20:21]
	ds_read_b32 v14, v8
	s_add_i32 s28, s28, s7
	s_cmp_ge_u32 s28, s17
	s_waitcnt vmcnt(0) lgkmcnt(0)
	s_barrier
	s_cbranch_scc1 .LBB60_3
.LBB60_7:                               ;   Parent Loop BB60_4 Depth=1
                                        ; =>  This Loop Header: Depth=2
                                        ;       Child Loop BB60_16 Depth 3
	v_add_u32_e32 v3, s28, v0
	v_add_u32_e32 v5, s25, v3
	s_and_saveexec_b64 s[20:21], vcc
	s_cbranch_execz .LBB60_14
; %bb.8:                                ;   in Loop: Header=BB60_7 Depth=2
	v_cmp_gt_u32_e64 s[10:11], s17, v3
	v_mov_b32_e32 v6, s19
	s_and_saveexec_b64 s[22:23], s[10:11]
	s_cbranch_execz .LBB60_10
; %bb.9:                                ;   in Loop: Header=BB60_7 Depth=2
	v_lshlrev_b64 v[15:16], 2, v[3:4]
	v_add_co_u32_e64 v15, s[10:11], v9, v15
	v_addc_co_u32_e64 v16, s[10:11], v11, v16, s[10:11]
	global_load_dword v6, v[15:16], off
.LBB60_10:                              ;   in Loop: Header=BB60_7 Depth=2
	s_or_b64 exec, exec, s[22:23]
	s_waitcnt vmcnt(0)
	ds_write_b32 v1, v6
	v_cmp_gt_u32_e64 s[10:11], s17, v5
	v_mov_b32_e32 v6, s19
	s_and_saveexec_b64 s[22:23], s[10:11]
	s_cbranch_execz .LBB60_12
; %bb.11:                               ;   in Loop: Header=BB60_7 Depth=2
	v_mov_b32_e32 v6, v4
	v_lshlrev_b64 v[15:16], 2, v[5:6]
	v_add_co_u32_e64 v15, s[10:11], v9, v15
	v_addc_co_u32_e64 v16, s[10:11], v11, v16, s[10:11]
	global_load_dword v6, v[15:16], off
.LBB60_12:                              ;   in Loop: Header=BB60_7 Depth=2
	s_or_b64 exec, exec, s[22:23]
	s_waitcnt vmcnt(0)
	ds_write_b32 v7, v6
	s_and_b64 exec, exec, s[0:1]
	s_cbranch_execz .LBB60_14
; %bb.13:                               ;   in Loop: Header=BB60_7 Depth=2
	ds_read_b32 v6, v10
	s_waitcnt lgkmcnt(0)
	v_mul_f32_e32 v6, v14, v6
	ds_write_b32 v10, v6
.LBB60_14:                              ;   in Loop: Header=BB60_7 Depth=2
	s_or_b64 exec, exec, s[20:21]
	v_mov_b32_e32 v6, 0
	s_mov_b64 s[20:21], 0
	s_waitcnt lgkmcnt(0)
	s_barrier
	s_branch .LBB60_16
.LBB60_15:                              ;   in Loop: Header=BB60_16 Depth=3
	s_or_b64 exec, exec, s[10:11]
	v_cmp_eq_u32_e64 s[10:11], s27, v6
	s_or_b64 s[20:21], s[10:11], s[20:21]
	s_waitcnt lgkmcnt(0)
	s_barrier
	s_andn2_b64 exec, exec, s[20:21]
	s_cbranch_execz .LBB60_20
.LBB60_16:                              ;   Parent Loop BB60_4 Depth=1
                                        ;     Parent Loop BB60_7 Depth=2
                                        ; =>    This Inner Loop Header: Depth=3
	v_add_u32_e32 v14, 1, v6
	s_and_saveexec_b64 s[10:11], s[8:9]
	s_xor_b64 s[10:11], exec, s[10:11]
; %bb.17:                               ;   in Loop: Header=BB60_16 Depth=3
	v_add_u32_e32 v6, 1, v6
                                        ; implicit-def: $vgpr14
; %bb.18:                               ;   in Loop: Header=BB60_16 Depth=3
	s_andn2_saveexec_b64 s[10:11], s[10:11]
	s_cbranch_execz .LBB60_15
; %bb.19:                               ;   in Loop: Header=BB60_16 Depth=3
	v_lshlrev_b32_e64 v15, v6, 1
	v_lshrrev_b32_e32 v16, v6, v0
	v_lshl_or_b32 v15, v16, v14, v15
	v_bfm_b32 v6, v6, 0
	v_and_b32_e32 v6, v6, v0
	v_lshl_add_u32 v15, v15, 2, v10
	v_lshl_add_u32 v6, v6, 2, v15
	v_add_u32_e32 v15, -4, v15
	ds_read_b32 v16, v6
	ds_read_b32 v15, v15
	s_waitcnt lgkmcnt(0)
	v_mul_f32_e32 v15, v16, v15
	ds_write_b32 v6, v15
	v_mov_b32_e32 v6, v14
	s_branch .LBB60_15
.LBB60_20:                              ;   in Loop: Header=BB60_7 Depth=2
	s_or_b64 exec, exec, s[20:21]
	s_and_saveexec_b64 s[20:21], vcc
	s_cbranch_execz .LBB60_6
; %bb.21:                               ;   in Loop: Header=BB60_7 Depth=2
	v_cmp_gt_u32_e64 s[10:11], s17, v3
	s_and_saveexec_b64 s[22:23], s[10:11]
	s_cbranch_execz .LBB60_23
; %bb.22:                               ;   in Loop: Header=BB60_7 Depth=2
	v_lshlrev_b64 v[14:15], 2, v[3:4]
	ds_read_b32 v3, v1
	v_add_co_u32_e64 v14, s[10:11], v12, v14
	v_addc_co_u32_e64 v15, s[10:11], v13, v15, s[10:11]
	s_waitcnt lgkmcnt(0)
	global_store_dword v[14:15], v3, off
.LBB60_23:                              ;   in Loop: Header=BB60_7 Depth=2
	s_or_b64 exec, exec, s[22:23]
	v_cmp_gt_u32_e64 s[10:11], s17, v5
	s_and_b64 exec, exec, s[10:11]
	s_cbranch_execz .LBB60_6
; %bb.24:                               ;   in Loop: Header=BB60_7 Depth=2
	v_mov_b32_e32 v6, v4
	ds_read_b32 v3, v7
	v_lshlrev_b64 v[5:6], 2, v[5:6]
	v_add_co_u32_e64 v5, s[10:11], v12, v5
	v_addc_co_u32_e64 v6, s[10:11], v13, v6, s[10:11]
	s_waitcnt lgkmcnt(0)
	global_store_dword v[5:6], v3, off
	s_branch .LBB60_6
.LBB60_25:
	s_mov_b64 s[0:1], 0
.LBB60_26:
	s_andn2_b64 vcc, exec, s[0:1]
	s_cbranch_vccnz .LBB60_53
; %bb.27:
	s_load_dword s2, s[4:5], 0x34
	s_add_u32 s0, s4, 40
	s_mov_b32 s8, s16
	s_mov_b32 s9, 0
	s_addc_u32 s1, s5, 0
	s_waitcnt lgkmcnt(0)
	s_lshr_b32 s2, s2, 16
	v_mov_b32_e32 v3, s8
	s_mul_hi_u32 s11, s2, s6
	s_mul_i32 s10, s2, s6
	v_mov_b32_e32 v4, s9
	v_cmp_ge_u64_e32 vcc, s[10:11], v[3:4]
	s_cbranch_vccnz .LBB60_53
; %bb.28:
	s_lshl_b32 s20, 1, s18
	s_load_dword s5, s[0:1], 0x0
	s_and_b32 s4, 0xffff, s2
	s_ashr_i32 s21, s20, 31
	s_cmp_lg_u32 s17, 0
	s_mov_b32 s22, s17
	s_cselect_b64 s[2:3], -1, 0
	s_lshl_b64 s[16:17], s[20:21], 1
	v_lshl_add_u32 v11, v0, 2, v10
	s_lshl_b32 s6, s16, 2
	v_cndmask_b32_e64 v3, 0, 1, s[2:3]
	v_mov_b32_e32 v1, 0
	s_mov_b32 s23, s9
	v_lshl_add_u32 v12, s20, 2, v11
	v_cmp_eq_u32_e64 s[0:1], 0, v0
	v_add3_u32 v13, v10, s6, -4
	s_waitcnt lgkmcnt(0)
	s_mul_i32 s33, s5, s4
	s_add_i32 s18, s18, 1
	v_cmp_ne_u32_e64 s[2:3], 1, v3
	s_branch .LBB60_30
.LBB60_29:                              ;   in Loop: Header=BB60_30 Depth=1
	s_add_u32 s10, s10, s33
	v_mov_b32_e32 v3, s8
	s_addc_u32 s11, s11, 0
	v_mov_b32_e32 v4, s9
	v_cmp_ge_u64_e32 vcc, s[10:11], v[3:4]
	s_cbranch_vccnz .LBB60_53
.LBB60_30:                              ; =>This Loop Header: Depth=1
                                        ;     Child Loop BB60_33 Depth 2
                                        ;       Child Loop BB60_43 Depth 3
	s_and_b64 vcc, exec, s[2:3]
	s_cbranch_vccnz .LBB60_29
; %bb.31:                               ;   in Loop: Header=BB60_30 Depth=1
	v_add_co_u32_e32 v3, vcc, s10, v2
	v_mad_u64_u32 v[5:6], s[4:5], v3, s22, 0
	v_mov_b32_e32 v4, s11
	v_addc_co_u32_e32 v4, vcc, 0, v4, vcc
	v_mad_u64_u32 v[6:7], s[4:5], v4, s22, v[6:7]
	v_mov_b32_e32 v7, s15
	v_cmp_gt_u64_e64 s[4:5], s[8:9], v[3:4]
	v_lshlrev_b64 v[5:6], 2, v[5:6]
	v_cmp_le_u64_e64 s[6:7], s[8:9], v[3:4]
	v_add_co_u32_e32 v14, vcc, s14, v5
	v_addc_co_u32_e32 v15, vcc, v7, v6, vcc
	v_mov_b32_e32 v7, s13
	v_add_co_u32_e32 v16, vcc, s12, v5
	v_addc_co_u32_e32 v17, vcc, v7, v6, vcc
	s_mov_b64 s[24:25], 0
	v_mov_b32_e32 v7, s19
	s_branch .LBB60_33
.LBB60_32:                              ;   in Loop: Header=BB60_33 Depth=2
	s_or_b64 exec, exec, s[26:27]
	ds_read_b32 v7, v13
	s_add_u32 s24, s24, s16
	v_mov_b32_e32 v3, s22
	s_addc_u32 s25, s25, s17
	v_mov_b32_e32 v4, s23
	v_cmp_ge_u64_e32 vcc, s[24:25], v[3:4]
	s_waitcnt lgkmcnt(0)
	s_waitcnt vmcnt(0)
	s_barrier
	s_cbranch_vccnz .LBB60_29
.LBB60_33:                              ;   Parent Loop BB60_30 Depth=1
                                        ; =>  This Loop Header: Depth=2
                                        ;       Child Loop BB60_43 Depth 3
	v_mov_b32_e32 v3, s25
	v_add_co_u32_e32 v5, vcc, s24, v0
	v_addc_co_u32_e32 v6, vcc, 0, v3, vcc
	v_mov_b32_e32 v4, s21
	v_add_co_u32_e32 v3, vcc, s20, v5
	v_addc_co_u32_e32 v4, vcc, v6, v4, vcc
	s_and_saveexec_b64 s[26:27], s[4:5]
	s_cbranch_execz .LBB60_40
; %bb.34:                               ;   in Loop: Header=BB60_33 Depth=2
	v_cmp_gt_u64_e32 vcc, s[22:23], v[5:6]
	v_mov_b32_e32 v8, s19
	s_and_saveexec_b64 s[28:29], vcc
	s_cbranch_execz .LBB60_36
; %bb.35:                               ;   in Loop: Header=BB60_33 Depth=2
	v_lshlrev_b64 v[8:9], 2, v[5:6]
	v_add_co_u32_e32 v8, vcc, v14, v8
	v_addc_co_u32_e32 v9, vcc, v15, v9, vcc
	global_load_dword v8, v[8:9], off
.LBB60_36:                              ;   in Loop: Header=BB60_33 Depth=2
	s_or_b64 exec, exec, s[28:29]
	v_cmp_gt_u64_e32 vcc, s[22:23], v[3:4]
	s_waitcnt vmcnt(0)
	ds_write_b32 v11, v8
	v_mov_b32_e32 v8, s19
	s_and_saveexec_b64 s[28:29], vcc
	s_cbranch_execz .LBB60_38
; %bb.37:                               ;   in Loop: Header=BB60_33 Depth=2
	v_lshlrev_b64 v[8:9], 2, v[3:4]
	v_add_co_u32_e32 v8, vcc, v14, v8
	v_addc_co_u32_e32 v9, vcc, v15, v9, vcc
	global_load_dword v8, v[8:9], off
.LBB60_38:                              ;   in Loop: Header=BB60_33 Depth=2
	s_or_b64 exec, exec, s[28:29]
	s_waitcnt vmcnt(0)
	ds_write_b32 v12, v8
	s_and_b64 exec, exec, s[0:1]
	s_cbranch_execz .LBB60_40
; %bb.39:                               ;   in Loop: Header=BB60_33 Depth=2
	ds_read_b32 v8, v10
	s_waitcnt lgkmcnt(0)
	v_mul_f32_e32 v7, v7, v8
	ds_write_b32 v10, v7
.LBB60_40:                              ;   in Loop: Header=BB60_33 Depth=2
	s_or_b64 exec, exec, s[26:27]
	v_mov_b32_e32 v19, 0
	s_mov_b64 s[26:27], 0
	s_waitcnt lgkmcnt(0)
	s_barrier
	s_branch .LBB60_43
.LBB60_41:                              ;   in Loop: Header=BB60_43 Depth=3
	s_or_b64 exec, exec, s[30:31]
	v_lshrrev_b32_e32 v9, v19, v0
	v_lshl_or_b32 v7, v9, v18, v7
	v_lshl_add_u32 v7, v7, 2, v10
	v_lshl_add_u32 v8, v8, 2, v7
	v_add_u32_e32 v7, -4, v7
	ds_read_b32 v9, v8
	ds_read_b32 v7, v7
	s_waitcnt lgkmcnt(0)
	v_mul_f32_e32 v7, v9, v7
	ds_write_b32 v8, v7
.LBB60_42:                              ;   in Loop: Header=BB60_43 Depth=3
	s_or_b64 exec, exec, s[28:29]
	v_cmp_eq_u32_e32 vcc, s18, v18
	s_or_b64 s[26:27], vcc, s[26:27]
	v_mov_b32_e32 v19, v18
	s_waitcnt lgkmcnt(0)
	s_barrier
	s_andn2_b64 exec, exec, s[26:27]
	s_cbranch_execz .LBB60_48
.LBB60_43:                              ;   Parent Loop BB60_30 Depth=1
                                        ;     Parent Loop BB60_33 Depth=2
                                        ; =>    This Inner Loop Header: Depth=3
	v_add_u32_e32 v18, 1, v19
	s_and_saveexec_b64 s[28:29], s[6:7]
	s_xor_b64 s[28:29], exec, s[28:29]
; %bb.44:                               ;   in Loop: Header=BB60_43 Depth=3
	v_add_u32_e32 v18, 1, v19
                                        ; implicit-def: $vgpr19
; %bb.45:                               ;   in Loop: Header=BB60_43 Depth=3
	s_andn2_saveexec_b64 s[28:29], s[28:29]
	s_cbranch_execz .LBB60_42
; %bb.46:                               ;   in Loop: Header=BB60_43 Depth=3
	v_lshlrev_b32_e64 v7, v19, 1
	v_ashrrev_i32_e32 v8, 31, v7
	v_cmp_ge_u64_e32 vcc, v[0:1], v[7:8]
	v_mov_b32_e32 v9, v1
	v_mov_b32_e32 v8, v0
	s_and_saveexec_b64 s[30:31], vcc
	s_cbranch_execz .LBB60_41
; %bb.47:                               ;   in Loop: Header=BB60_43 Depth=3
	v_cvt_f32_u32_e32 v8, v7
	v_sub_u32_e32 v9, 0, v7
	v_rcp_iflag_f32_e32 v8, v8
	v_mul_f32_e32 v8, 0x4f7ffffe, v8
	v_cvt_u32_f32_e32 v8, v8
	v_mul_lo_u32 v9, v9, v8
	v_mul_hi_u32 v9, v8, v9
	v_add_u32_e32 v8, v8, v9
	v_mul_hi_u32 v8, v0, v8
	v_mul_lo_u32 v8, v8, v7
	v_sub_u32_e32 v8, v0, v8
	v_sub_u32_e32 v9, v8, v7
	v_cmp_ge_u32_e32 vcc, v8, v7
	v_cndmask_b32_e32 v8, v8, v9, vcc
	v_sub_u32_e32 v9, v8, v7
	v_cmp_ge_u32_e32 vcc, v8, v7
	v_cndmask_b32_e32 v8, v8, v9, vcc
	s_branch .LBB60_41
.LBB60_48:                              ;   in Loop: Header=BB60_33 Depth=2
	s_or_b64 exec, exec, s[26:27]
	s_and_saveexec_b64 s[26:27], s[4:5]
	s_cbranch_execz .LBB60_32
; %bb.49:                               ;   in Loop: Header=BB60_33 Depth=2
	v_cmp_gt_u64_e32 vcc, s[22:23], v[5:6]
	s_and_saveexec_b64 s[28:29], vcc
	s_cbranch_execz .LBB60_51
; %bb.50:                               ;   in Loop: Header=BB60_33 Depth=2
	ds_read_b32 v7, v11
	v_lshlrev_b64 v[5:6], 2, v[5:6]
	v_add_co_u32_e32 v5, vcc, v16, v5
	v_addc_co_u32_e32 v6, vcc, v17, v6, vcc
	s_waitcnt lgkmcnt(0)
	global_store_dword v[5:6], v7, off
.LBB60_51:                              ;   in Loop: Header=BB60_33 Depth=2
	s_or_b64 exec, exec, s[28:29]
	v_cmp_gt_u64_e32 vcc, s[22:23], v[3:4]
	s_and_b64 exec, exec, vcc
	s_cbranch_execz .LBB60_32
; %bb.52:                               ;   in Loop: Header=BB60_33 Depth=2
	ds_read_b32 v5, v12
	v_lshlrev_b64 v[3:4], 2, v[3:4]
	v_add_co_u32_e32 v3, vcc, v16, v3
	v_addc_co_u32_e32 v4, vcc, v17, v4, vcc
	s_waitcnt lgkmcnt(0)
	global_store_dword v[3:4], v5, off
	s_branch .LBB60_32
.LBB60_53:
	s_endpgm
	.section	.rodata,"a",@progbits
	.p2align	6, 0x0
	.amdhsa_kernel _ZN2at6native32tensor_kernel_scan_innermost_dimIfSt10multipliesIfEEEvPT_PKS4_jjjS4_T0_
		.amdhsa_group_segment_fixed_size 0
		.amdhsa_private_segment_fixed_size 0
		.amdhsa_kernarg_size 296
		.amdhsa_user_sgpr_count 6
		.amdhsa_user_sgpr_private_segment_buffer 1
		.amdhsa_user_sgpr_dispatch_ptr 0
		.amdhsa_user_sgpr_queue_ptr 0
		.amdhsa_user_sgpr_kernarg_segment_ptr 1
		.amdhsa_user_sgpr_dispatch_id 0
		.amdhsa_user_sgpr_flat_scratch_init 0
		.amdhsa_user_sgpr_private_segment_size 0
		.amdhsa_uses_dynamic_stack 0
		.amdhsa_system_sgpr_private_segment_wavefront_offset 0
		.amdhsa_system_sgpr_workgroup_id_x 1
		.amdhsa_system_sgpr_workgroup_id_y 0
		.amdhsa_system_sgpr_workgroup_id_z 0
		.amdhsa_system_sgpr_workgroup_info 0
		.amdhsa_system_vgpr_workitem_id 1
		.amdhsa_next_free_vgpr 20
		.amdhsa_next_free_sgpr 34
		.amdhsa_reserve_vcc 1
		.amdhsa_reserve_flat_scratch 0
		.amdhsa_float_round_mode_32 0
		.amdhsa_float_round_mode_16_64 0
		.amdhsa_float_denorm_mode_32 3
		.amdhsa_float_denorm_mode_16_64 3
		.amdhsa_dx10_clamp 1
		.amdhsa_ieee_mode 1
		.amdhsa_fp16_overflow 0
		.amdhsa_exception_fp_ieee_invalid_op 0
		.amdhsa_exception_fp_denorm_src 0
		.amdhsa_exception_fp_ieee_div_zero 0
		.amdhsa_exception_fp_ieee_overflow 0
		.amdhsa_exception_fp_ieee_underflow 0
		.amdhsa_exception_fp_ieee_inexact 0
		.amdhsa_exception_int_div_zero 0
	.end_amdhsa_kernel
	.section	.text._ZN2at6native32tensor_kernel_scan_innermost_dimIfSt10multipliesIfEEEvPT_PKS4_jjjS4_T0_,"axG",@progbits,_ZN2at6native32tensor_kernel_scan_innermost_dimIfSt10multipliesIfEEEvPT_PKS4_jjjS4_T0_,comdat
.Lfunc_end60:
	.size	_ZN2at6native32tensor_kernel_scan_innermost_dimIfSt10multipliesIfEEEvPT_PKS4_jjjS4_T0_, .Lfunc_end60-_ZN2at6native32tensor_kernel_scan_innermost_dimIfSt10multipliesIfEEEvPT_PKS4_jjjS4_T0_
                                        ; -- End function
	.set _ZN2at6native32tensor_kernel_scan_innermost_dimIfSt10multipliesIfEEEvPT_PKS4_jjjS4_T0_.num_vgpr, 20
	.set _ZN2at6native32tensor_kernel_scan_innermost_dimIfSt10multipliesIfEEEvPT_PKS4_jjjS4_T0_.num_agpr, 0
	.set _ZN2at6native32tensor_kernel_scan_innermost_dimIfSt10multipliesIfEEEvPT_PKS4_jjjS4_T0_.numbered_sgpr, 34
	.set _ZN2at6native32tensor_kernel_scan_innermost_dimIfSt10multipliesIfEEEvPT_PKS4_jjjS4_T0_.num_named_barrier, 0
	.set _ZN2at6native32tensor_kernel_scan_innermost_dimIfSt10multipliesIfEEEvPT_PKS4_jjjS4_T0_.private_seg_size, 0
	.set _ZN2at6native32tensor_kernel_scan_innermost_dimIfSt10multipliesIfEEEvPT_PKS4_jjjS4_T0_.uses_vcc, 1
	.set _ZN2at6native32tensor_kernel_scan_innermost_dimIfSt10multipliesIfEEEvPT_PKS4_jjjS4_T0_.uses_flat_scratch, 0
	.set _ZN2at6native32tensor_kernel_scan_innermost_dimIfSt10multipliesIfEEEvPT_PKS4_jjjS4_T0_.has_dyn_sized_stack, 0
	.set _ZN2at6native32tensor_kernel_scan_innermost_dimIfSt10multipliesIfEEEvPT_PKS4_jjjS4_T0_.has_recursion, 0
	.set _ZN2at6native32tensor_kernel_scan_innermost_dimIfSt10multipliesIfEEEvPT_PKS4_jjjS4_T0_.has_indirect_call, 0
	.section	.AMDGPU.csdata,"",@progbits
; Kernel info:
; codeLenInByte = 1724
; TotalNumSgprs: 38
; NumVgprs: 20
; ScratchSize: 0
; MemoryBound: 0
; FloatMode: 240
; IeeeMode: 1
; LDSByteSize: 0 bytes/workgroup (compile time only)
; SGPRBlocks: 4
; VGPRBlocks: 4
; NumSGPRsForWavesPerEU: 38
; NumVGPRsForWavesPerEU: 20
; Occupancy: 10
; WaveLimiterHint : 0
; COMPUTE_PGM_RSRC2:SCRATCH_EN: 0
; COMPUTE_PGM_RSRC2:USER_SGPR: 6
; COMPUTE_PGM_RSRC2:TRAP_HANDLER: 0
; COMPUTE_PGM_RSRC2:TGID_X_EN: 1
; COMPUTE_PGM_RSRC2:TGID_Y_EN: 0
; COMPUTE_PGM_RSRC2:TGID_Z_EN: 0
; COMPUTE_PGM_RSRC2:TIDIG_COMP_CNT: 1
	.section	.text._ZN2at6native28tensor_kernel_scan_outer_dimIfjSt10multipliesIfEEEvPT_PKS4_jjjS4_T1_,"axG",@progbits,_ZN2at6native28tensor_kernel_scan_outer_dimIfjSt10multipliesIfEEEvPT_PKS4_jjjS4_T1_,comdat
	.protected	_ZN2at6native28tensor_kernel_scan_outer_dimIfjSt10multipliesIfEEEvPT_PKS4_jjjS4_T1_ ; -- Begin function _ZN2at6native28tensor_kernel_scan_outer_dimIfjSt10multipliesIfEEEvPT_PKS4_jjjS4_T1_
	.globl	_ZN2at6native28tensor_kernel_scan_outer_dimIfjSt10multipliesIfEEEvPT_PKS4_jjjS4_T1_
	.p2align	8
	.type	_ZN2at6native28tensor_kernel_scan_outer_dimIfjSt10multipliesIfEEEvPT_PKS4_jjjS4_T1_,@function
_ZN2at6native28tensor_kernel_scan_outer_dimIfjSt10multipliesIfEEEvPT_PKS4_jjjS4_T1_: ; @_ZN2at6native28tensor_kernel_scan_outer_dimIfjSt10multipliesIfEEEvPT_PKS4_jjjS4_T1_
; %bb.0:
	s_load_dwordx4 s[8:11], s[4:5], 0x10
	s_waitcnt lgkmcnt(0)
	s_cmp_ge_u32 s6, s8
	s_cbranch_scc1 .LBB61_9
; %bb.1:
	s_load_dword s0, s[4:5], 0x34
	s_load_dwordx4 s[12:15], s[4:5], 0x0
	s_load_dword s28, s[4:5], 0x28
	s_add_u32 s16, s4, 40
	s_addc_u32 s17, s5, 0
	s_waitcnt lgkmcnt(0)
	s_and_b32 s29, s0, 0xffff
	s_cmp_lg_u32 s10, 0
	s_mul_i32 s7, s7, s29
	s_cselect_b64 s[2:3], -1, 0
	s_mul_i32 s4, s6, s10
	v_add_u32_e32 v2, s7, v0
	s_mov_b32 s19, 0
	s_mov_b32 s18, s9
	s_mul_i32 s4, s4, s9
	s_mul_i32 s7, s28, s10
	v_cndmask_b32_e64 v0, 0, 1, s[2:3]
	v_cmp_gt_u32_e64 s[0:1], s9, v2
	s_mul_i32 s7, s7, s9
	s_lshl_b64 s[20:21], s[18:19], 2
	v_cmp_ne_u32_e64 s[2:3], 1, v0
	v_mov_b32_e32 v1, 0
	s_mov_b32 s18, s4
	s_branch .LBB61_3
.LBB61_2:                               ;   in Loop: Header=BB61_3 Depth=1
	s_or_b64 exec, exec, s[22:23]
	s_add_i32 s6, s28, s6
	s_add_i32 s18, s18, s7
	s_cmp_ge_u32 s6, s8
	s_cbranch_scc1 .LBB61_9
.LBB61_3:                               ; =>This Loop Header: Depth=1
                                        ;     Child Loop BB61_6 Depth 2
                                        ;       Child Loop BB61_8 Depth 3
	s_and_saveexec_b64 s[22:23], s[0:1]
	s_cbranch_execz .LBB61_2
; %bb.4:                                ;   in Loop: Header=BB61_3 Depth=1
	s_load_dword s30, s[16:17], 0x4
	s_lshl_b64 s[24:25], s[18:19], 2
	s_mov_b64 s[26:27], 0
	v_mov_b32_e32 v0, v2
	s_waitcnt lgkmcnt(0)
	s_mul_i32 s30, s30, s29
	s_branch .LBB61_6
.LBB61_5:                               ;   in Loop: Header=BB61_6 Depth=2
	v_add_u32_e32 v0, s30, v0
	v_cmp_le_u32_e32 vcc, s9, v0
	s_or_b64 s[26:27], vcc, s[26:27]
	s_andn2_b64 exec, exec, s[26:27]
	s_cbranch_execz .LBB61_2
.LBB61_6:                               ;   Parent Loop BB61_3 Depth=1
                                        ; =>  This Loop Header: Depth=2
                                        ;       Child Loop BB61_8 Depth 3
	s_and_b64 vcc, exec, s[2:3]
	s_cbranch_vccnz .LBB61_5
; %bb.7:                                ;   in Loop: Header=BB61_6 Depth=2
	v_lshlrev_b64 v[3:4], 2, v[0:1]
	v_mov_b32_e32 v5, s25
	v_add_co_u32_e32 v3, vcc, s24, v3
	v_addc_co_u32_e32 v4, vcc, v5, v4, vcc
	v_mov_b32_e32 v5, s11
	s_mov_b32 s31, s10
.LBB61_8:                               ;   Parent Loop BB61_3 Depth=1
                                        ;     Parent Loop BB61_6 Depth=2
                                        ; =>    This Inner Loop Header: Depth=3
	v_mov_b32_e32 v7, s15
	v_add_co_u32_e32 v6, vcc, s14, v3
	v_addc_co_u32_e32 v7, vcc, v7, v4, vcc
	global_load_dword v8, v[6:7], off
	v_mov_b32_e32 v7, s13
	v_add_co_u32_e32 v6, vcc, s12, v3
	s_add_i32 s31, s31, -1
	v_mov_b32_e32 v9, s21
	v_add_co_u32_e64 v3, s[4:5], s20, v3
	v_addc_co_u32_e32 v7, vcc, v7, v4, vcc
	v_addc_co_u32_e64 v4, vcc, v4, v9, s[4:5]
	s_cmp_eq_u32 s31, 0
	s_waitcnt vmcnt(0)
	v_mul_f32_e32 v5, v5, v8
	global_store_dword v[6:7], v5, off
	s_cbranch_scc0 .LBB61_8
	s_branch .LBB61_5
.LBB61_9:
	s_endpgm
	.section	.rodata,"a",@progbits
	.p2align	6, 0x0
	.amdhsa_kernel _ZN2at6native28tensor_kernel_scan_outer_dimIfjSt10multipliesIfEEEvPT_PKS4_jjjS4_T1_
		.amdhsa_group_segment_fixed_size 0
		.amdhsa_private_segment_fixed_size 0
		.amdhsa_kernarg_size 296
		.amdhsa_user_sgpr_count 6
		.amdhsa_user_sgpr_private_segment_buffer 1
		.amdhsa_user_sgpr_dispatch_ptr 0
		.amdhsa_user_sgpr_queue_ptr 0
		.amdhsa_user_sgpr_kernarg_segment_ptr 1
		.amdhsa_user_sgpr_dispatch_id 0
		.amdhsa_user_sgpr_flat_scratch_init 0
		.amdhsa_user_sgpr_private_segment_size 0
		.amdhsa_uses_dynamic_stack 0
		.amdhsa_system_sgpr_private_segment_wavefront_offset 0
		.amdhsa_system_sgpr_workgroup_id_x 1
		.amdhsa_system_sgpr_workgroup_id_y 1
		.amdhsa_system_sgpr_workgroup_id_z 0
		.amdhsa_system_sgpr_workgroup_info 0
		.amdhsa_system_vgpr_workitem_id 0
		.amdhsa_next_free_vgpr 10
		.amdhsa_next_free_sgpr 32
		.amdhsa_reserve_vcc 1
		.amdhsa_reserve_flat_scratch 0
		.amdhsa_float_round_mode_32 0
		.amdhsa_float_round_mode_16_64 0
		.amdhsa_float_denorm_mode_32 3
		.amdhsa_float_denorm_mode_16_64 3
		.amdhsa_dx10_clamp 1
		.amdhsa_ieee_mode 1
		.amdhsa_fp16_overflow 0
		.amdhsa_exception_fp_ieee_invalid_op 0
		.amdhsa_exception_fp_denorm_src 0
		.amdhsa_exception_fp_ieee_div_zero 0
		.amdhsa_exception_fp_ieee_overflow 0
		.amdhsa_exception_fp_ieee_underflow 0
		.amdhsa_exception_fp_ieee_inexact 0
		.amdhsa_exception_int_div_zero 0
	.end_amdhsa_kernel
	.section	.text._ZN2at6native28tensor_kernel_scan_outer_dimIfjSt10multipliesIfEEEvPT_PKS4_jjjS4_T1_,"axG",@progbits,_ZN2at6native28tensor_kernel_scan_outer_dimIfjSt10multipliesIfEEEvPT_PKS4_jjjS4_T1_,comdat
.Lfunc_end61:
	.size	_ZN2at6native28tensor_kernel_scan_outer_dimIfjSt10multipliesIfEEEvPT_PKS4_jjjS4_T1_, .Lfunc_end61-_ZN2at6native28tensor_kernel_scan_outer_dimIfjSt10multipliesIfEEEvPT_PKS4_jjjS4_T1_
                                        ; -- End function
	.set _ZN2at6native28tensor_kernel_scan_outer_dimIfjSt10multipliesIfEEEvPT_PKS4_jjjS4_T1_.num_vgpr, 10
	.set _ZN2at6native28tensor_kernel_scan_outer_dimIfjSt10multipliesIfEEEvPT_PKS4_jjjS4_T1_.num_agpr, 0
	.set _ZN2at6native28tensor_kernel_scan_outer_dimIfjSt10multipliesIfEEEvPT_PKS4_jjjS4_T1_.numbered_sgpr, 32
	.set _ZN2at6native28tensor_kernel_scan_outer_dimIfjSt10multipliesIfEEEvPT_PKS4_jjjS4_T1_.num_named_barrier, 0
	.set _ZN2at6native28tensor_kernel_scan_outer_dimIfjSt10multipliesIfEEEvPT_PKS4_jjjS4_T1_.private_seg_size, 0
	.set _ZN2at6native28tensor_kernel_scan_outer_dimIfjSt10multipliesIfEEEvPT_PKS4_jjjS4_T1_.uses_vcc, 1
	.set _ZN2at6native28tensor_kernel_scan_outer_dimIfjSt10multipliesIfEEEvPT_PKS4_jjjS4_T1_.uses_flat_scratch, 0
	.set _ZN2at6native28tensor_kernel_scan_outer_dimIfjSt10multipliesIfEEEvPT_PKS4_jjjS4_T1_.has_dyn_sized_stack, 0
	.set _ZN2at6native28tensor_kernel_scan_outer_dimIfjSt10multipliesIfEEEvPT_PKS4_jjjS4_T1_.has_recursion, 0
	.set _ZN2at6native28tensor_kernel_scan_outer_dimIfjSt10multipliesIfEEEvPT_PKS4_jjjS4_T1_.has_indirect_call, 0
	.section	.AMDGPU.csdata,"",@progbits
; Kernel info:
; codeLenInByte = 348
; TotalNumSgprs: 36
; NumVgprs: 10
; ScratchSize: 0
; MemoryBound: 0
; FloatMode: 240
; IeeeMode: 1
; LDSByteSize: 0 bytes/workgroup (compile time only)
; SGPRBlocks: 4
; VGPRBlocks: 2
; NumSGPRsForWavesPerEU: 36
; NumVGPRsForWavesPerEU: 10
; Occupancy: 10
; WaveLimiterHint : 0
; COMPUTE_PGM_RSRC2:SCRATCH_EN: 0
; COMPUTE_PGM_RSRC2:USER_SGPR: 6
; COMPUTE_PGM_RSRC2:TRAP_HANDLER: 0
; COMPUTE_PGM_RSRC2:TGID_X_EN: 1
; COMPUTE_PGM_RSRC2:TGID_Y_EN: 1
; COMPUTE_PGM_RSRC2:TGID_Z_EN: 0
; COMPUTE_PGM_RSRC2:TIDIG_COMP_CNT: 0
	.section	.text._ZN2at6native28tensor_kernel_scan_outer_dimIfmSt10multipliesIfEEEvPT_PKS4_jjjS4_T1_,"axG",@progbits,_ZN2at6native28tensor_kernel_scan_outer_dimIfmSt10multipliesIfEEEvPT_PKS4_jjjS4_T1_,comdat
	.protected	_ZN2at6native28tensor_kernel_scan_outer_dimIfmSt10multipliesIfEEEvPT_PKS4_jjjS4_T1_ ; -- Begin function _ZN2at6native28tensor_kernel_scan_outer_dimIfmSt10multipliesIfEEEvPT_PKS4_jjjS4_T1_
	.globl	_ZN2at6native28tensor_kernel_scan_outer_dimIfmSt10multipliesIfEEEvPT_PKS4_jjjS4_T1_
	.p2align	8
	.type	_ZN2at6native28tensor_kernel_scan_outer_dimIfmSt10multipliesIfEEEvPT_PKS4_jjjS4_T1_,@function
_ZN2at6native28tensor_kernel_scan_outer_dimIfmSt10multipliesIfEEEvPT_PKS4_jjjS4_T1_: ; @_ZN2at6native28tensor_kernel_scan_outer_dimIfmSt10multipliesIfEEEvPT_PKS4_jjjS4_T1_
; %bb.0:
	s_load_dwordx4 s[8:11], s[4:5], 0x10
	s_waitcnt lgkmcnt(0)
	s_cmp_ge_u32 s6, s8
	s_cbranch_scc1 .LBB62_9
; %bb.1:
	s_load_dword s0, s[4:5], 0x34
	s_load_dwordx4 s[12:15], s[4:5], 0x0
	s_load_dword s26, s[4:5], 0x28
	s_add_u32 s16, s4, 40
	s_addc_u32 s17, s5, 0
	s_waitcnt lgkmcnt(0)
	s_and_b32 s27, s0, 0xffff
	s_cmp_lg_u32 s10, 0
	s_mul_i32 s7, s7, s27
	s_cselect_b64 s[4:5], -1, 0
	v_add_u32_e32 v2, s7, v0
	s_mov_b32 s3, 0
	s_mov_b32 s2, s9
	s_mul_hi_u32 s19, s10, s9
	s_mul_i32 s18, s10, s9
	v_cndmask_b32_e64 v0, 0, 1, s[4:5]
	v_cmp_gt_u32_e64 s[0:1], s9, v2
	s_lshl_b64 s[18:19], s[18:19], 2
	s_lshl_b64 s[20:21], s[2:3], 2
	v_cmp_ne_u32_e64 s[2:3], 1, v0
	v_mov_b32_e32 v1, 0
	s_branch .LBB62_3
.LBB62_2:                               ;   in Loop: Header=BB62_3 Depth=1
	s_or_b64 exec, exec, s[22:23]
	s_add_i32 s6, s6, s26
	s_cmp_ge_u32 s6, s8
	s_cbranch_scc1 .LBB62_9
.LBB62_3:                               ; =>This Loop Header: Depth=1
                                        ;     Child Loop BB62_6 Depth 2
                                        ;       Child Loop BB62_8 Depth 3
	s_and_saveexec_b64 s[22:23], s[0:1]
	s_cbranch_execz .LBB62_2
; %bb.4:                                ;   in Loop: Header=BB62_3 Depth=1
	s_load_dword s29, s[16:17], 0x4
	s_mul_i32 s4, s19, s6
	s_mul_hi_u32 s5, s18, s6
	s_mul_i32 s7, s18, s6
	s_add_i32 s28, s5, s4
	s_waitcnt lgkmcnt(0)
	s_mul_i32 s29, s29, s27
	s_mov_b64 s[24:25], 0
	v_mov_b32_e32 v0, v2
	s_branch .LBB62_6
.LBB62_5:                               ;   in Loop: Header=BB62_6 Depth=2
	v_add_u32_e32 v0, s29, v0
	v_cmp_le_u32_e32 vcc, s9, v0
	s_or_b64 s[24:25], vcc, s[24:25]
	s_andn2_b64 exec, exec, s[24:25]
	s_cbranch_execz .LBB62_2
.LBB62_6:                               ;   Parent Loop BB62_3 Depth=1
                                        ; =>  This Loop Header: Depth=2
                                        ;       Child Loop BB62_8 Depth 3
	s_and_b64 vcc, exec, s[2:3]
	s_cbranch_vccnz .LBB62_5
; %bb.7:                                ;   in Loop: Header=BB62_6 Depth=2
	v_lshlrev_b64 v[3:4], 2, v[0:1]
	v_mov_b32_e32 v5, s28
	v_add_co_u32_e32 v3, vcc, s7, v3
	v_addc_co_u32_e32 v4, vcc, v5, v4, vcc
	v_mov_b32_e32 v5, s11
	s_mov_b32 s30, s10
.LBB62_8:                               ;   Parent Loop BB62_3 Depth=1
                                        ;     Parent Loop BB62_6 Depth=2
                                        ; =>    This Inner Loop Header: Depth=3
	v_mov_b32_e32 v7, s15
	v_add_co_u32_e32 v6, vcc, s14, v3
	v_addc_co_u32_e32 v7, vcc, v7, v4, vcc
	global_load_dword v8, v[6:7], off
	v_mov_b32_e32 v7, s13
	v_add_co_u32_e32 v6, vcc, s12, v3
	s_add_i32 s30, s30, -1
	v_mov_b32_e32 v9, s21
	v_add_co_u32_e64 v3, s[4:5], s20, v3
	v_addc_co_u32_e32 v7, vcc, v7, v4, vcc
	v_addc_co_u32_e64 v4, vcc, v4, v9, s[4:5]
	s_cmp_eq_u32 s30, 0
	s_waitcnt vmcnt(0)
	v_mul_f32_e32 v5, v5, v8
	global_store_dword v[6:7], v5, off
	s_cbranch_scc0 .LBB62_8
	s_branch .LBB62_5
.LBB62_9:
	s_endpgm
	.section	.rodata,"a",@progbits
	.p2align	6, 0x0
	.amdhsa_kernel _ZN2at6native28tensor_kernel_scan_outer_dimIfmSt10multipliesIfEEEvPT_PKS4_jjjS4_T1_
		.amdhsa_group_segment_fixed_size 0
		.amdhsa_private_segment_fixed_size 0
		.amdhsa_kernarg_size 296
		.amdhsa_user_sgpr_count 6
		.amdhsa_user_sgpr_private_segment_buffer 1
		.amdhsa_user_sgpr_dispatch_ptr 0
		.amdhsa_user_sgpr_queue_ptr 0
		.amdhsa_user_sgpr_kernarg_segment_ptr 1
		.amdhsa_user_sgpr_dispatch_id 0
		.amdhsa_user_sgpr_flat_scratch_init 0
		.amdhsa_user_sgpr_private_segment_size 0
		.amdhsa_uses_dynamic_stack 0
		.amdhsa_system_sgpr_private_segment_wavefront_offset 0
		.amdhsa_system_sgpr_workgroup_id_x 1
		.amdhsa_system_sgpr_workgroup_id_y 1
		.amdhsa_system_sgpr_workgroup_id_z 0
		.amdhsa_system_sgpr_workgroup_info 0
		.amdhsa_system_vgpr_workitem_id 0
		.amdhsa_next_free_vgpr 10
		.amdhsa_next_free_sgpr 31
		.amdhsa_reserve_vcc 1
		.amdhsa_reserve_flat_scratch 0
		.amdhsa_float_round_mode_32 0
		.amdhsa_float_round_mode_16_64 0
		.amdhsa_float_denorm_mode_32 3
		.amdhsa_float_denorm_mode_16_64 3
		.amdhsa_dx10_clamp 1
		.amdhsa_ieee_mode 1
		.amdhsa_fp16_overflow 0
		.amdhsa_exception_fp_ieee_invalid_op 0
		.amdhsa_exception_fp_denorm_src 0
		.amdhsa_exception_fp_ieee_div_zero 0
		.amdhsa_exception_fp_ieee_overflow 0
		.amdhsa_exception_fp_ieee_underflow 0
		.amdhsa_exception_fp_ieee_inexact 0
		.amdhsa_exception_int_div_zero 0
	.end_amdhsa_kernel
	.section	.text._ZN2at6native28tensor_kernel_scan_outer_dimIfmSt10multipliesIfEEEvPT_PKS4_jjjS4_T1_,"axG",@progbits,_ZN2at6native28tensor_kernel_scan_outer_dimIfmSt10multipliesIfEEEvPT_PKS4_jjjS4_T1_,comdat
.Lfunc_end62:
	.size	_ZN2at6native28tensor_kernel_scan_outer_dimIfmSt10multipliesIfEEEvPT_PKS4_jjjS4_T1_, .Lfunc_end62-_ZN2at6native28tensor_kernel_scan_outer_dimIfmSt10multipliesIfEEEvPT_PKS4_jjjS4_T1_
                                        ; -- End function
	.set _ZN2at6native28tensor_kernel_scan_outer_dimIfmSt10multipliesIfEEEvPT_PKS4_jjjS4_T1_.num_vgpr, 10
	.set _ZN2at6native28tensor_kernel_scan_outer_dimIfmSt10multipliesIfEEEvPT_PKS4_jjjS4_T1_.num_agpr, 0
	.set _ZN2at6native28tensor_kernel_scan_outer_dimIfmSt10multipliesIfEEEvPT_PKS4_jjjS4_T1_.numbered_sgpr, 31
	.set _ZN2at6native28tensor_kernel_scan_outer_dimIfmSt10multipliesIfEEEvPT_PKS4_jjjS4_T1_.num_named_barrier, 0
	.set _ZN2at6native28tensor_kernel_scan_outer_dimIfmSt10multipliesIfEEEvPT_PKS4_jjjS4_T1_.private_seg_size, 0
	.set _ZN2at6native28tensor_kernel_scan_outer_dimIfmSt10multipliesIfEEEvPT_PKS4_jjjS4_T1_.uses_vcc, 1
	.set _ZN2at6native28tensor_kernel_scan_outer_dimIfmSt10multipliesIfEEEvPT_PKS4_jjjS4_T1_.uses_flat_scratch, 0
	.set _ZN2at6native28tensor_kernel_scan_outer_dimIfmSt10multipliesIfEEEvPT_PKS4_jjjS4_T1_.has_dyn_sized_stack, 0
	.set _ZN2at6native28tensor_kernel_scan_outer_dimIfmSt10multipliesIfEEEvPT_PKS4_jjjS4_T1_.has_recursion, 0
	.set _ZN2at6native28tensor_kernel_scan_outer_dimIfmSt10multipliesIfEEEvPT_PKS4_jjjS4_T1_.has_indirect_call, 0
	.section	.AMDGPU.csdata,"",@progbits
; Kernel info:
; codeLenInByte = 348
; TotalNumSgprs: 35
; NumVgprs: 10
; ScratchSize: 0
; MemoryBound: 0
; FloatMode: 240
; IeeeMode: 1
; LDSByteSize: 0 bytes/workgroup (compile time only)
; SGPRBlocks: 4
; VGPRBlocks: 2
; NumSGPRsForWavesPerEU: 35
; NumVGPRsForWavesPerEU: 10
; Occupancy: 10
; WaveLimiterHint : 0
; COMPUTE_PGM_RSRC2:SCRATCH_EN: 0
; COMPUTE_PGM_RSRC2:USER_SGPR: 6
; COMPUTE_PGM_RSRC2:TRAP_HANDLER: 0
; COMPUTE_PGM_RSRC2:TGID_X_EN: 1
; COMPUTE_PGM_RSRC2:TGID_Y_EN: 1
; COMPUTE_PGM_RSRC2:TGID_Z_EN: 0
; COMPUTE_PGM_RSRC2:TIDIG_COMP_CNT: 0
	.section	.text._ZN7rocprim17ROCPRIM_304000_NS6detail31init_lookback_scan_state_kernelINS1_19lookback_scan_stateIN3c107complexIdEELb1ELb0EEEEEvT_jjPNS8_10value_typeE,"axG",@progbits,_ZN7rocprim17ROCPRIM_304000_NS6detail31init_lookback_scan_state_kernelINS1_19lookback_scan_stateIN3c107complexIdEELb1ELb0EEEEEvT_jjPNS8_10value_typeE,comdat
	.protected	_ZN7rocprim17ROCPRIM_304000_NS6detail31init_lookback_scan_state_kernelINS1_19lookback_scan_stateIN3c107complexIdEELb1ELb0EEEEEvT_jjPNS8_10value_typeE ; -- Begin function _ZN7rocprim17ROCPRIM_304000_NS6detail31init_lookback_scan_state_kernelINS1_19lookback_scan_stateIN3c107complexIdEELb1ELb0EEEEEvT_jjPNS8_10value_typeE
	.globl	_ZN7rocprim17ROCPRIM_304000_NS6detail31init_lookback_scan_state_kernelINS1_19lookback_scan_stateIN3c107complexIdEELb1ELb0EEEEEvT_jjPNS8_10value_typeE
	.p2align	8
	.type	_ZN7rocprim17ROCPRIM_304000_NS6detail31init_lookback_scan_state_kernelINS1_19lookback_scan_stateIN3c107complexIdEELb1ELb0EEEEEvT_jjPNS8_10value_typeE,@function
_ZN7rocprim17ROCPRIM_304000_NS6detail31init_lookback_scan_state_kernelINS1_19lookback_scan_stateIN3c107complexIdEELb1ELb0EEEEEvT_jjPNS8_10value_typeE: ; @_ZN7rocprim17ROCPRIM_304000_NS6detail31init_lookback_scan_state_kernelINS1_19lookback_scan_stateIN3c107complexIdEELb1ELb0EEEEEvT_jjPNS8_10value_typeE
; %bb.0:
	s_load_dword s7, s[4:5], 0x34
	s_load_dwordx2 s[12:13], s[4:5], 0x20
	s_load_dwordx4 s[0:3], s[4:5], 0x10
	s_waitcnt lgkmcnt(0)
	s_and_b32 s7, s7, 0xffff
	s_mul_i32 s6, s6, s7
	s_cmp_eq_u64 s[12:13], 0
	v_add_u32_e32 v0, s6, v0
	s_cbranch_scc1 .LBB63_9
; %bb.1:
	s_cmp_lt_u32 s3, s2
	s_cselect_b32 s6, s3, 0
	s_mov_b32 s15, 0
	v_cmp_eq_u32_e32 vcc, s6, v0
	s_and_saveexec_b64 s[6:7], vcc
	s_cbranch_execz .LBB63_8
; %bb.2:
	s_add_i32 s14, s3, 64
	v_mov_b32_e32 v1, s14
	global_load_ubyte v2, v1, s[0:1] glc
	s_load_dwordx4 s[8:11], s[4:5], 0x0
	v_mov_b32_e32 v1, 0
	s_add_u32 s4, s0, s14
	s_addc_u32 s5, s1, 0
	s_waitcnt vmcnt(0)
	v_cmp_ne_u32_sdwa s[16:17], v2, v1 src0_sel:WORD_0 src1_sel:DWORD
	s_and_b64 vcc, exec, s[16:17]
	v_readfirstlane_b32 s16, v2
	s_cbranch_vccnz .LBB63_7
; %bb.3:
	s_mov_b32 s3, 1
.LBB63_4:                               ; =>This Loop Header: Depth=1
                                        ;     Child Loop BB63_5 Depth 2
	s_mov_b32 s16, s3
.LBB63_5:                               ;   Parent Loop BB63_4 Depth=1
                                        ; =>  This Inner Loop Header: Depth=2
	s_add_i32 s16, s16, -1
	s_cmp_eq_u32 s16, 0
	s_sleep 1
	s_cbranch_scc0 .LBB63_5
; %bb.6:                                ;   in Loop: Header=BB63_4 Depth=1
	global_load_ubyte v2, v1, s[4:5] glc
	s_cmp_lt_u32 s3, 32
	s_cselect_b64 s[16:17], -1, 0
	s_cmp_lg_u64 s[16:17], 0
	s_addc_u32 s3, s3, 0
	s_waitcnt vmcnt(0)
	v_cmp_ne_u32_sdwa s[16:17], v2, v1 src0_sel:WORD_0 src1_sel:DWORD
	s_and_b64 vcc, exec, s[16:17]
	v_readfirstlane_b32 s16, v2
	s_cbranch_vccz .LBB63_4
.LBB63_7:
	s_and_b32 s3, 0xffff, s16
	s_cmp_eq_u32 s3, 1
	s_waitcnt lgkmcnt(0)
	s_cselect_b32 s3, s9, s11
	s_cselect_b32 s8, s8, s10
	s_lshl_b64 s[4:5], s[14:15], 4
	s_add_u32 s4, s8, s4
	s_addc_u32 s5, s3, s5
	v_mov_b32_e32 v5, 0
	buffer_wbinvl1_vol
	global_load_dwordx4 v[1:4], v5, s[4:5]
	s_waitcnt vmcnt(0)
	global_store_dwordx4 v5, v[1:4], s[12:13]
.LBB63_8:
	s_or_b64 exec, exec, s[6:7]
.LBB63_9:
	v_cmp_gt_u32_e32 vcc, s2, v0
	s_and_saveexec_b64 s[2:3], vcc
	s_cbranch_execnz .LBB63_12
; %bb.10:
	s_or_b64 exec, exec, s[2:3]
	v_cmp_gt_u32_e32 vcc, 64, v0
	s_and_saveexec_b64 s[2:3], vcc
	s_cbranch_execnz .LBB63_13
.LBB63_11:
	s_endpgm
.LBB63_12:
	v_add_u32_e32 v1, 64, v0
	v_mov_b32_e32 v2, 0
	global_store_byte v1, v2, s[0:1]
	s_or_b64 exec, exec, s[2:3]
	v_cmp_gt_u32_e32 vcc, 64, v0
	s_and_saveexec_b64 s[2:3], vcc
	s_cbranch_execz .LBB63_11
.LBB63_13:
	v_mov_b32_e32 v1, 0xff
	global_store_byte v0, v1, s[0:1]
	s_endpgm
	.section	.rodata,"a",@progbits
	.p2align	6, 0x0
	.amdhsa_kernel _ZN7rocprim17ROCPRIM_304000_NS6detail31init_lookback_scan_state_kernelINS1_19lookback_scan_stateIN3c107complexIdEELb1ELb0EEEEEvT_jjPNS8_10value_typeE
		.amdhsa_group_segment_fixed_size 0
		.amdhsa_private_segment_fixed_size 0
		.amdhsa_kernarg_size 296
		.amdhsa_user_sgpr_count 6
		.amdhsa_user_sgpr_private_segment_buffer 1
		.amdhsa_user_sgpr_dispatch_ptr 0
		.amdhsa_user_sgpr_queue_ptr 0
		.amdhsa_user_sgpr_kernarg_segment_ptr 1
		.amdhsa_user_sgpr_dispatch_id 0
		.amdhsa_user_sgpr_flat_scratch_init 0
		.amdhsa_user_sgpr_private_segment_size 0
		.amdhsa_uses_dynamic_stack 0
		.amdhsa_system_sgpr_private_segment_wavefront_offset 0
		.amdhsa_system_sgpr_workgroup_id_x 1
		.amdhsa_system_sgpr_workgroup_id_y 0
		.amdhsa_system_sgpr_workgroup_id_z 0
		.amdhsa_system_sgpr_workgroup_info 0
		.amdhsa_system_vgpr_workitem_id 0
		.amdhsa_next_free_vgpr 6
		.amdhsa_next_free_sgpr 18
		.amdhsa_reserve_vcc 1
		.amdhsa_reserve_flat_scratch 0
		.amdhsa_float_round_mode_32 0
		.amdhsa_float_round_mode_16_64 0
		.amdhsa_float_denorm_mode_32 3
		.amdhsa_float_denorm_mode_16_64 3
		.amdhsa_dx10_clamp 1
		.amdhsa_ieee_mode 1
		.amdhsa_fp16_overflow 0
		.amdhsa_exception_fp_ieee_invalid_op 0
		.amdhsa_exception_fp_denorm_src 0
		.amdhsa_exception_fp_ieee_div_zero 0
		.amdhsa_exception_fp_ieee_overflow 0
		.amdhsa_exception_fp_ieee_underflow 0
		.amdhsa_exception_fp_ieee_inexact 0
		.amdhsa_exception_int_div_zero 0
	.end_amdhsa_kernel
	.section	.text._ZN7rocprim17ROCPRIM_304000_NS6detail31init_lookback_scan_state_kernelINS1_19lookback_scan_stateIN3c107complexIdEELb1ELb0EEEEEvT_jjPNS8_10value_typeE,"axG",@progbits,_ZN7rocprim17ROCPRIM_304000_NS6detail31init_lookback_scan_state_kernelINS1_19lookback_scan_stateIN3c107complexIdEELb1ELb0EEEEEvT_jjPNS8_10value_typeE,comdat
.Lfunc_end63:
	.size	_ZN7rocprim17ROCPRIM_304000_NS6detail31init_lookback_scan_state_kernelINS1_19lookback_scan_stateIN3c107complexIdEELb1ELb0EEEEEvT_jjPNS8_10value_typeE, .Lfunc_end63-_ZN7rocprim17ROCPRIM_304000_NS6detail31init_lookback_scan_state_kernelINS1_19lookback_scan_stateIN3c107complexIdEELb1ELb0EEEEEvT_jjPNS8_10value_typeE
                                        ; -- End function
	.set _ZN7rocprim17ROCPRIM_304000_NS6detail31init_lookback_scan_state_kernelINS1_19lookback_scan_stateIN3c107complexIdEELb1ELb0EEEEEvT_jjPNS8_10value_typeE.num_vgpr, 6
	.set _ZN7rocprim17ROCPRIM_304000_NS6detail31init_lookback_scan_state_kernelINS1_19lookback_scan_stateIN3c107complexIdEELb1ELb0EEEEEvT_jjPNS8_10value_typeE.num_agpr, 0
	.set _ZN7rocprim17ROCPRIM_304000_NS6detail31init_lookback_scan_state_kernelINS1_19lookback_scan_stateIN3c107complexIdEELb1ELb0EEEEEvT_jjPNS8_10value_typeE.numbered_sgpr, 18
	.set _ZN7rocprim17ROCPRIM_304000_NS6detail31init_lookback_scan_state_kernelINS1_19lookback_scan_stateIN3c107complexIdEELb1ELb0EEEEEvT_jjPNS8_10value_typeE.num_named_barrier, 0
	.set _ZN7rocprim17ROCPRIM_304000_NS6detail31init_lookback_scan_state_kernelINS1_19lookback_scan_stateIN3c107complexIdEELb1ELb0EEEEEvT_jjPNS8_10value_typeE.private_seg_size, 0
	.set _ZN7rocprim17ROCPRIM_304000_NS6detail31init_lookback_scan_state_kernelINS1_19lookback_scan_stateIN3c107complexIdEELb1ELb0EEEEEvT_jjPNS8_10value_typeE.uses_vcc, 1
	.set _ZN7rocprim17ROCPRIM_304000_NS6detail31init_lookback_scan_state_kernelINS1_19lookback_scan_stateIN3c107complexIdEELb1ELb0EEEEEvT_jjPNS8_10value_typeE.uses_flat_scratch, 0
	.set _ZN7rocprim17ROCPRIM_304000_NS6detail31init_lookback_scan_state_kernelINS1_19lookback_scan_stateIN3c107complexIdEELb1ELb0EEEEEvT_jjPNS8_10value_typeE.has_dyn_sized_stack, 0
	.set _ZN7rocprim17ROCPRIM_304000_NS6detail31init_lookback_scan_state_kernelINS1_19lookback_scan_stateIN3c107complexIdEELb1ELb0EEEEEvT_jjPNS8_10value_typeE.has_recursion, 0
	.set _ZN7rocprim17ROCPRIM_304000_NS6detail31init_lookback_scan_state_kernelINS1_19lookback_scan_stateIN3c107complexIdEELb1ELb0EEEEEvT_jjPNS8_10value_typeE.has_indirect_call, 0
	.section	.AMDGPU.csdata,"",@progbits
; Kernel info:
; codeLenInByte = 364
; TotalNumSgprs: 22
; NumVgprs: 6
; ScratchSize: 0
; MemoryBound: 0
; FloatMode: 240
; IeeeMode: 1
; LDSByteSize: 0 bytes/workgroup (compile time only)
; SGPRBlocks: 2
; VGPRBlocks: 1
; NumSGPRsForWavesPerEU: 22
; NumVGPRsForWavesPerEU: 6
; Occupancy: 10
; WaveLimiterHint : 0
; COMPUTE_PGM_RSRC2:SCRATCH_EN: 0
; COMPUTE_PGM_RSRC2:USER_SGPR: 6
; COMPUTE_PGM_RSRC2:TRAP_HANDLER: 0
; COMPUTE_PGM_RSRC2:TGID_X_EN: 1
; COMPUTE_PGM_RSRC2:TGID_Y_EN: 0
; COMPUTE_PGM_RSRC2:TGID_Z_EN: 0
; COMPUTE_PGM_RSRC2:TIDIG_COMP_CNT: 0
	.section	.text._ZN7rocprim17ROCPRIM_304000_NS6detail31init_lookback_scan_state_kernelINS1_19lookback_scan_stateIN3c107complexIdEELb0ELb0EEEEEvT_jjPNS8_10value_typeE,"axG",@progbits,_ZN7rocprim17ROCPRIM_304000_NS6detail31init_lookback_scan_state_kernelINS1_19lookback_scan_stateIN3c107complexIdEELb0ELb0EEEEEvT_jjPNS8_10value_typeE,comdat
	.protected	_ZN7rocprim17ROCPRIM_304000_NS6detail31init_lookback_scan_state_kernelINS1_19lookback_scan_stateIN3c107complexIdEELb0ELb0EEEEEvT_jjPNS8_10value_typeE ; -- Begin function _ZN7rocprim17ROCPRIM_304000_NS6detail31init_lookback_scan_state_kernelINS1_19lookback_scan_stateIN3c107complexIdEELb0ELb0EEEEEvT_jjPNS8_10value_typeE
	.globl	_ZN7rocprim17ROCPRIM_304000_NS6detail31init_lookback_scan_state_kernelINS1_19lookback_scan_stateIN3c107complexIdEELb0ELb0EEEEEvT_jjPNS8_10value_typeE
	.p2align	8
	.type	_ZN7rocprim17ROCPRIM_304000_NS6detail31init_lookback_scan_state_kernelINS1_19lookback_scan_stateIN3c107complexIdEELb0ELb0EEEEEvT_jjPNS8_10value_typeE,@function
_ZN7rocprim17ROCPRIM_304000_NS6detail31init_lookback_scan_state_kernelINS1_19lookback_scan_stateIN3c107complexIdEELb0ELb0EEEEEvT_jjPNS8_10value_typeE: ; @_ZN7rocprim17ROCPRIM_304000_NS6detail31init_lookback_scan_state_kernelINS1_19lookback_scan_stateIN3c107complexIdEELb0ELb0EEEEEvT_jjPNS8_10value_typeE
; %bb.0:
	s_load_dword s7, s[4:5], 0x34
	s_load_dwordx2 s[12:13], s[4:5], 0x20
	s_load_dwordx4 s[0:3], s[4:5], 0x10
	s_waitcnt lgkmcnt(0)
	s_and_b32 s7, s7, 0xffff
	s_mul_i32 s6, s6, s7
	s_cmp_eq_u64 s[12:13], 0
	v_add_u32_e32 v0, s6, v0
	s_cbranch_scc1 .LBB64_6
; %bb.1:
	s_cmp_lt_u32 s3, s2
	s_cselect_b32 s6, s3, 0
	s_mov_b32 s15, 0
	v_cmp_eq_u32_e32 vcc, s6, v0
	s_and_saveexec_b64 s[6:7], vcc
	s_cbranch_execz .LBB64_5
; %bb.2:
	s_add_i32 s14, s3, 64
	v_mov_b32_e32 v1, s14
	global_load_ubyte v2, v1, s[0:1] glc
	s_load_dwordx4 s[8:11], s[4:5], 0x0
	v_mov_b32_e32 v1, 0
	s_add_u32 s4, s0, s14
	s_addc_u32 s5, s1, 0
	s_waitcnt vmcnt(0)
	v_cmp_ne_u32_sdwa s[16:17], v2, v1 src0_sel:WORD_0 src1_sel:DWORD
	s_and_b64 vcc, exec, s[16:17]
	v_readfirstlane_b32 s3, v2
	s_cbranch_vccnz .LBB64_4
.LBB64_3:                               ; =>This Inner Loop Header: Depth=1
	global_load_ubyte v2, v1, s[4:5] glc
	s_waitcnt vmcnt(0)
	v_cmp_eq_u32_sdwa s[16:17], v2, v1 src0_sel:WORD_0 src1_sel:DWORD
	s_and_b64 vcc, exec, s[16:17]
	v_readfirstlane_b32 s3, v2
	s_cbranch_vccnz .LBB64_3
.LBB64_4:
	s_and_b32 s3, 0xffff, s3
	s_cmp_eq_u32 s3, 1
	s_waitcnt lgkmcnt(0)
	s_cselect_b32 s3, s9, s11
	s_cselect_b32 s8, s8, s10
	s_lshl_b64 s[4:5], s[14:15], 4
	s_add_u32 s4, s8, s4
	s_addc_u32 s5, s3, s5
	v_mov_b32_e32 v5, 0
	buffer_wbinvl1_vol
	global_load_dwordx4 v[1:4], v5, s[4:5]
	s_waitcnt vmcnt(0)
	global_store_dwordx4 v5, v[1:4], s[12:13]
.LBB64_5:
	s_or_b64 exec, exec, s[6:7]
.LBB64_6:
	v_cmp_gt_u32_e32 vcc, s2, v0
	s_and_saveexec_b64 s[2:3], vcc
	s_cbranch_execnz .LBB64_9
; %bb.7:
	s_or_b64 exec, exec, s[2:3]
	v_cmp_gt_u32_e32 vcc, 64, v0
	s_and_saveexec_b64 s[2:3], vcc
	s_cbranch_execnz .LBB64_10
.LBB64_8:
	s_endpgm
.LBB64_9:
	v_add_u32_e32 v1, 64, v0
	v_mov_b32_e32 v2, 0
	global_store_byte v1, v2, s[0:1]
	s_or_b64 exec, exec, s[2:3]
	v_cmp_gt_u32_e32 vcc, 64, v0
	s_and_saveexec_b64 s[2:3], vcc
	s_cbranch_execz .LBB64_8
.LBB64_10:
	v_mov_b32_e32 v1, 0xff
	global_store_byte v0, v1, s[0:1]
	s_endpgm
	.section	.rodata,"a",@progbits
	.p2align	6, 0x0
	.amdhsa_kernel _ZN7rocprim17ROCPRIM_304000_NS6detail31init_lookback_scan_state_kernelINS1_19lookback_scan_stateIN3c107complexIdEELb0ELb0EEEEEvT_jjPNS8_10value_typeE
		.amdhsa_group_segment_fixed_size 0
		.amdhsa_private_segment_fixed_size 0
		.amdhsa_kernarg_size 296
		.amdhsa_user_sgpr_count 6
		.amdhsa_user_sgpr_private_segment_buffer 1
		.amdhsa_user_sgpr_dispatch_ptr 0
		.amdhsa_user_sgpr_queue_ptr 0
		.amdhsa_user_sgpr_kernarg_segment_ptr 1
		.amdhsa_user_sgpr_dispatch_id 0
		.amdhsa_user_sgpr_flat_scratch_init 0
		.amdhsa_user_sgpr_private_segment_size 0
		.amdhsa_uses_dynamic_stack 0
		.amdhsa_system_sgpr_private_segment_wavefront_offset 0
		.amdhsa_system_sgpr_workgroup_id_x 1
		.amdhsa_system_sgpr_workgroup_id_y 0
		.amdhsa_system_sgpr_workgroup_id_z 0
		.amdhsa_system_sgpr_workgroup_info 0
		.amdhsa_system_vgpr_workitem_id 0
		.amdhsa_next_free_vgpr 6
		.amdhsa_next_free_sgpr 18
		.amdhsa_reserve_vcc 1
		.amdhsa_reserve_flat_scratch 0
		.amdhsa_float_round_mode_32 0
		.amdhsa_float_round_mode_16_64 0
		.amdhsa_float_denorm_mode_32 3
		.amdhsa_float_denorm_mode_16_64 3
		.amdhsa_dx10_clamp 1
		.amdhsa_ieee_mode 1
		.amdhsa_fp16_overflow 0
		.amdhsa_exception_fp_ieee_invalid_op 0
		.amdhsa_exception_fp_denorm_src 0
		.amdhsa_exception_fp_ieee_div_zero 0
		.amdhsa_exception_fp_ieee_overflow 0
		.amdhsa_exception_fp_ieee_underflow 0
		.amdhsa_exception_fp_ieee_inexact 0
		.amdhsa_exception_int_div_zero 0
	.end_amdhsa_kernel
	.section	.text._ZN7rocprim17ROCPRIM_304000_NS6detail31init_lookback_scan_state_kernelINS1_19lookback_scan_stateIN3c107complexIdEELb0ELb0EEEEEvT_jjPNS8_10value_typeE,"axG",@progbits,_ZN7rocprim17ROCPRIM_304000_NS6detail31init_lookback_scan_state_kernelINS1_19lookback_scan_stateIN3c107complexIdEELb0ELb0EEEEEvT_jjPNS8_10value_typeE,comdat
.Lfunc_end64:
	.size	_ZN7rocprim17ROCPRIM_304000_NS6detail31init_lookback_scan_state_kernelINS1_19lookback_scan_stateIN3c107complexIdEELb0ELb0EEEEEvT_jjPNS8_10value_typeE, .Lfunc_end64-_ZN7rocprim17ROCPRIM_304000_NS6detail31init_lookback_scan_state_kernelINS1_19lookback_scan_stateIN3c107complexIdEELb0ELb0EEEEEvT_jjPNS8_10value_typeE
                                        ; -- End function
	.set _ZN7rocprim17ROCPRIM_304000_NS6detail31init_lookback_scan_state_kernelINS1_19lookback_scan_stateIN3c107complexIdEELb0ELb0EEEEEvT_jjPNS8_10value_typeE.num_vgpr, 6
	.set _ZN7rocprim17ROCPRIM_304000_NS6detail31init_lookback_scan_state_kernelINS1_19lookback_scan_stateIN3c107complexIdEELb0ELb0EEEEEvT_jjPNS8_10value_typeE.num_agpr, 0
	.set _ZN7rocprim17ROCPRIM_304000_NS6detail31init_lookback_scan_state_kernelINS1_19lookback_scan_stateIN3c107complexIdEELb0ELb0EEEEEvT_jjPNS8_10value_typeE.numbered_sgpr, 18
	.set _ZN7rocprim17ROCPRIM_304000_NS6detail31init_lookback_scan_state_kernelINS1_19lookback_scan_stateIN3c107complexIdEELb0ELb0EEEEEvT_jjPNS8_10value_typeE.num_named_barrier, 0
	.set _ZN7rocprim17ROCPRIM_304000_NS6detail31init_lookback_scan_state_kernelINS1_19lookback_scan_stateIN3c107complexIdEELb0ELb0EEEEEvT_jjPNS8_10value_typeE.private_seg_size, 0
	.set _ZN7rocprim17ROCPRIM_304000_NS6detail31init_lookback_scan_state_kernelINS1_19lookback_scan_stateIN3c107complexIdEELb0ELb0EEEEEvT_jjPNS8_10value_typeE.uses_vcc, 1
	.set _ZN7rocprim17ROCPRIM_304000_NS6detail31init_lookback_scan_state_kernelINS1_19lookback_scan_stateIN3c107complexIdEELb0ELb0EEEEEvT_jjPNS8_10value_typeE.uses_flat_scratch, 0
	.set _ZN7rocprim17ROCPRIM_304000_NS6detail31init_lookback_scan_state_kernelINS1_19lookback_scan_stateIN3c107complexIdEELb0ELb0EEEEEvT_jjPNS8_10value_typeE.has_dyn_sized_stack, 0
	.set _ZN7rocprim17ROCPRIM_304000_NS6detail31init_lookback_scan_state_kernelINS1_19lookback_scan_stateIN3c107complexIdEELb0ELb0EEEEEvT_jjPNS8_10value_typeE.has_recursion, 0
	.set _ZN7rocprim17ROCPRIM_304000_NS6detail31init_lookback_scan_state_kernelINS1_19lookback_scan_stateIN3c107complexIdEELb0ELb0EEEEEvT_jjPNS8_10value_typeE.has_indirect_call, 0
	.section	.AMDGPU.csdata,"",@progbits
; Kernel info:
; codeLenInByte = 324
; TotalNumSgprs: 22
; NumVgprs: 6
; ScratchSize: 0
; MemoryBound: 0
; FloatMode: 240
; IeeeMode: 1
; LDSByteSize: 0 bytes/workgroup (compile time only)
; SGPRBlocks: 2
; VGPRBlocks: 1
; NumSGPRsForWavesPerEU: 22
; NumVGPRsForWavesPerEU: 6
; Occupancy: 10
; WaveLimiterHint : 0
; COMPUTE_PGM_RSRC2:SCRATCH_EN: 0
; COMPUTE_PGM_RSRC2:USER_SGPR: 6
; COMPUTE_PGM_RSRC2:TRAP_HANDLER: 0
; COMPUTE_PGM_RSRC2:TGID_X_EN: 1
; COMPUTE_PGM_RSRC2:TGID_Y_EN: 0
; COMPUTE_PGM_RSRC2:TGID_Z_EN: 0
; COMPUTE_PGM_RSRC2:TIDIG_COMP_CNT: 0
	.section	.text._ZN7rocprim17ROCPRIM_304000_NS6detail20lookback_scan_kernelILNS1_25lookback_scan_determinismE0ELb0ENS1_19wrapped_scan_configINS0_14default_configEN3c107complexIdEEEEPKS8_PS8_St10multipliesIS8_ES8_S8_NS1_19lookback_scan_stateIS8_Lb1ELb0EEEEEvT2_T3_mT5_T4_T7_jPT6_SN_bb,"axG",@progbits,_ZN7rocprim17ROCPRIM_304000_NS6detail20lookback_scan_kernelILNS1_25lookback_scan_determinismE0ELb0ENS1_19wrapped_scan_configINS0_14default_configEN3c107complexIdEEEEPKS8_PS8_St10multipliesIS8_ES8_S8_NS1_19lookback_scan_stateIS8_Lb1ELb0EEEEEvT2_T3_mT5_T4_T7_jPT6_SN_bb,comdat
	.protected	_ZN7rocprim17ROCPRIM_304000_NS6detail20lookback_scan_kernelILNS1_25lookback_scan_determinismE0ELb0ENS1_19wrapped_scan_configINS0_14default_configEN3c107complexIdEEEEPKS8_PS8_St10multipliesIS8_ES8_S8_NS1_19lookback_scan_stateIS8_Lb1ELb0EEEEEvT2_T3_mT5_T4_T7_jPT6_SN_bb ; -- Begin function _ZN7rocprim17ROCPRIM_304000_NS6detail20lookback_scan_kernelILNS1_25lookback_scan_determinismE0ELb0ENS1_19wrapped_scan_configINS0_14default_configEN3c107complexIdEEEEPKS8_PS8_St10multipliesIS8_ES8_S8_NS1_19lookback_scan_stateIS8_Lb1ELb0EEEEEvT2_T3_mT5_T4_T7_jPT6_SN_bb
	.globl	_ZN7rocprim17ROCPRIM_304000_NS6detail20lookback_scan_kernelILNS1_25lookback_scan_determinismE0ELb0ENS1_19wrapped_scan_configINS0_14default_configEN3c107complexIdEEEEPKS8_PS8_St10multipliesIS8_ES8_S8_NS1_19lookback_scan_stateIS8_Lb1ELb0EEEEEvT2_T3_mT5_T4_T7_jPT6_SN_bb
	.p2align	8
	.type	_ZN7rocprim17ROCPRIM_304000_NS6detail20lookback_scan_kernelILNS1_25lookback_scan_determinismE0ELb0ENS1_19wrapped_scan_configINS0_14default_configEN3c107complexIdEEEEPKS8_PS8_St10multipliesIS8_ES8_S8_NS1_19lookback_scan_stateIS8_Lb1ELb0EEEEEvT2_T3_mT5_T4_T7_jPT6_SN_bb,@function
_ZN7rocprim17ROCPRIM_304000_NS6detail20lookback_scan_kernelILNS1_25lookback_scan_determinismE0ELb0ENS1_19wrapped_scan_configINS0_14default_configEN3c107complexIdEEEEPKS8_PS8_St10multipliesIS8_ES8_S8_NS1_19lookback_scan_stateIS8_Lb1ELb0EEEEEvT2_T3_mT5_T4_T7_jPT6_SN_bb: ; @_ZN7rocprim17ROCPRIM_304000_NS6detail20lookback_scan_kernelILNS1_25lookback_scan_determinismE0ELb0ENS1_19wrapped_scan_configINS0_14default_configEN3c107complexIdEEEEPKS8_PS8_St10multipliesIS8_ES8_S8_NS1_19lookback_scan_stateIS8_Lb1ELb0EEEEEvT2_T3_mT5_T4_T7_jPT6_SN_bb
; %bb.0:
	s_endpgm
	.section	.rodata,"a",@progbits
	.p2align	6, 0x0
	.amdhsa_kernel _ZN7rocprim17ROCPRIM_304000_NS6detail20lookback_scan_kernelILNS1_25lookback_scan_determinismE0ELb0ENS1_19wrapped_scan_configINS0_14default_configEN3c107complexIdEEEEPKS8_PS8_St10multipliesIS8_ES8_S8_NS1_19lookback_scan_stateIS8_Lb1ELb0EEEEEvT2_T3_mT5_T4_T7_jPT6_SN_bb
		.amdhsa_group_segment_fixed_size 0
		.amdhsa_private_segment_fixed_size 0
		.amdhsa_kernarg_size 108
		.amdhsa_user_sgpr_count 6
		.amdhsa_user_sgpr_private_segment_buffer 1
		.amdhsa_user_sgpr_dispatch_ptr 0
		.amdhsa_user_sgpr_queue_ptr 0
		.amdhsa_user_sgpr_kernarg_segment_ptr 1
		.amdhsa_user_sgpr_dispatch_id 0
		.amdhsa_user_sgpr_flat_scratch_init 0
		.amdhsa_user_sgpr_private_segment_size 0
		.amdhsa_uses_dynamic_stack 0
		.amdhsa_system_sgpr_private_segment_wavefront_offset 0
		.amdhsa_system_sgpr_workgroup_id_x 1
		.amdhsa_system_sgpr_workgroup_id_y 0
		.amdhsa_system_sgpr_workgroup_id_z 0
		.amdhsa_system_sgpr_workgroup_info 0
		.amdhsa_system_vgpr_workitem_id 0
		.amdhsa_next_free_vgpr 1
		.amdhsa_next_free_sgpr 0
		.amdhsa_reserve_vcc 0
		.amdhsa_reserve_flat_scratch 0
		.amdhsa_float_round_mode_32 0
		.amdhsa_float_round_mode_16_64 0
		.amdhsa_float_denorm_mode_32 3
		.amdhsa_float_denorm_mode_16_64 3
		.amdhsa_dx10_clamp 1
		.amdhsa_ieee_mode 1
		.amdhsa_fp16_overflow 0
		.amdhsa_exception_fp_ieee_invalid_op 0
		.amdhsa_exception_fp_denorm_src 0
		.amdhsa_exception_fp_ieee_div_zero 0
		.amdhsa_exception_fp_ieee_overflow 0
		.amdhsa_exception_fp_ieee_underflow 0
		.amdhsa_exception_fp_ieee_inexact 0
		.amdhsa_exception_int_div_zero 0
	.end_amdhsa_kernel
	.section	.text._ZN7rocprim17ROCPRIM_304000_NS6detail20lookback_scan_kernelILNS1_25lookback_scan_determinismE0ELb0ENS1_19wrapped_scan_configINS0_14default_configEN3c107complexIdEEEEPKS8_PS8_St10multipliesIS8_ES8_S8_NS1_19lookback_scan_stateIS8_Lb1ELb0EEEEEvT2_T3_mT5_T4_T7_jPT6_SN_bb,"axG",@progbits,_ZN7rocprim17ROCPRIM_304000_NS6detail20lookback_scan_kernelILNS1_25lookback_scan_determinismE0ELb0ENS1_19wrapped_scan_configINS0_14default_configEN3c107complexIdEEEEPKS8_PS8_St10multipliesIS8_ES8_S8_NS1_19lookback_scan_stateIS8_Lb1ELb0EEEEEvT2_T3_mT5_T4_T7_jPT6_SN_bb,comdat
.Lfunc_end65:
	.size	_ZN7rocprim17ROCPRIM_304000_NS6detail20lookback_scan_kernelILNS1_25lookback_scan_determinismE0ELb0ENS1_19wrapped_scan_configINS0_14default_configEN3c107complexIdEEEEPKS8_PS8_St10multipliesIS8_ES8_S8_NS1_19lookback_scan_stateIS8_Lb1ELb0EEEEEvT2_T3_mT5_T4_T7_jPT6_SN_bb, .Lfunc_end65-_ZN7rocprim17ROCPRIM_304000_NS6detail20lookback_scan_kernelILNS1_25lookback_scan_determinismE0ELb0ENS1_19wrapped_scan_configINS0_14default_configEN3c107complexIdEEEEPKS8_PS8_St10multipliesIS8_ES8_S8_NS1_19lookback_scan_stateIS8_Lb1ELb0EEEEEvT2_T3_mT5_T4_T7_jPT6_SN_bb
                                        ; -- End function
	.set _ZN7rocprim17ROCPRIM_304000_NS6detail20lookback_scan_kernelILNS1_25lookback_scan_determinismE0ELb0ENS1_19wrapped_scan_configINS0_14default_configEN3c107complexIdEEEEPKS8_PS8_St10multipliesIS8_ES8_S8_NS1_19lookback_scan_stateIS8_Lb1ELb0EEEEEvT2_T3_mT5_T4_T7_jPT6_SN_bb.num_vgpr, 0
	.set _ZN7rocprim17ROCPRIM_304000_NS6detail20lookback_scan_kernelILNS1_25lookback_scan_determinismE0ELb0ENS1_19wrapped_scan_configINS0_14default_configEN3c107complexIdEEEEPKS8_PS8_St10multipliesIS8_ES8_S8_NS1_19lookback_scan_stateIS8_Lb1ELb0EEEEEvT2_T3_mT5_T4_T7_jPT6_SN_bb.num_agpr, 0
	.set _ZN7rocprim17ROCPRIM_304000_NS6detail20lookback_scan_kernelILNS1_25lookback_scan_determinismE0ELb0ENS1_19wrapped_scan_configINS0_14default_configEN3c107complexIdEEEEPKS8_PS8_St10multipliesIS8_ES8_S8_NS1_19lookback_scan_stateIS8_Lb1ELb0EEEEEvT2_T3_mT5_T4_T7_jPT6_SN_bb.numbered_sgpr, 0
	.set _ZN7rocprim17ROCPRIM_304000_NS6detail20lookback_scan_kernelILNS1_25lookback_scan_determinismE0ELb0ENS1_19wrapped_scan_configINS0_14default_configEN3c107complexIdEEEEPKS8_PS8_St10multipliesIS8_ES8_S8_NS1_19lookback_scan_stateIS8_Lb1ELb0EEEEEvT2_T3_mT5_T4_T7_jPT6_SN_bb.num_named_barrier, 0
	.set _ZN7rocprim17ROCPRIM_304000_NS6detail20lookback_scan_kernelILNS1_25lookback_scan_determinismE0ELb0ENS1_19wrapped_scan_configINS0_14default_configEN3c107complexIdEEEEPKS8_PS8_St10multipliesIS8_ES8_S8_NS1_19lookback_scan_stateIS8_Lb1ELb0EEEEEvT2_T3_mT5_T4_T7_jPT6_SN_bb.private_seg_size, 0
	.set _ZN7rocprim17ROCPRIM_304000_NS6detail20lookback_scan_kernelILNS1_25lookback_scan_determinismE0ELb0ENS1_19wrapped_scan_configINS0_14default_configEN3c107complexIdEEEEPKS8_PS8_St10multipliesIS8_ES8_S8_NS1_19lookback_scan_stateIS8_Lb1ELb0EEEEEvT2_T3_mT5_T4_T7_jPT6_SN_bb.uses_vcc, 0
	.set _ZN7rocprim17ROCPRIM_304000_NS6detail20lookback_scan_kernelILNS1_25lookback_scan_determinismE0ELb0ENS1_19wrapped_scan_configINS0_14default_configEN3c107complexIdEEEEPKS8_PS8_St10multipliesIS8_ES8_S8_NS1_19lookback_scan_stateIS8_Lb1ELb0EEEEEvT2_T3_mT5_T4_T7_jPT6_SN_bb.uses_flat_scratch, 0
	.set _ZN7rocprim17ROCPRIM_304000_NS6detail20lookback_scan_kernelILNS1_25lookback_scan_determinismE0ELb0ENS1_19wrapped_scan_configINS0_14default_configEN3c107complexIdEEEEPKS8_PS8_St10multipliesIS8_ES8_S8_NS1_19lookback_scan_stateIS8_Lb1ELb0EEEEEvT2_T3_mT5_T4_T7_jPT6_SN_bb.has_dyn_sized_stack, 0
	.set _ZN7rocprim17ROCPRIM_304000_NS6detail20lookback_scan_kernelILNS1_25lookback_scan_determinismE0ELb0ENS1_19wrapped_scan_configINS0_14default_configEN3c107complexIdEEEEPKS8_PS8_St10multipliesIS8_ES8_S8_NS1_19lookback_scan_stateIS8_Lb1ELb0EEEEEvT2_T3_mT5_T4_T7_jPT6_SN_bb.has_recursion, 0
	.set _ZN7rocprim17ROCPRIM_304000_NS6detail20lookback_scan_kernelILNS1_25lookback_scan_determinismE0ELb0ENS1_19wrapped_scan_configINS0_14default_configEN3c107complexIdEEEEPKS8_PS8_St10multipliesIS8_ES8_S8_NS1_19lookback_scan_stateIS8_Lb1ELb0EEEEEvT2_T3_mT5_T4_T7_jPT6_SN_bb.has_indirect_call, 0
	.section	.AMDGPU.csdata,"",@progbits
; Kernel info:
; codeLenInByte = 4
; TotalNumSgprs: 4
; NumVgprs: 0
; ScratchSize: 0
; MemoryBound: 0
; FloatMode: 240
; IeeeMode: 1
; LDSByteSize: 0 bytes/workgroup (compile time only)
; SGPRBlocks: 0
; VGPRBlocks: 0
; NumSGPRsForWavesPerEU: 4
; NumVGPRsForWavesPerEU: 1
; Occupancy: 10
; WaveLimiterHint : 0
; COMPUTE_PGM_RSRC2:SCRATCH_EN: 0
; COMPUTE_PGM_RSRC2:USER_SGPR: 6
; COMPUTE_PGM_RSRC2:TRAP_HANDLER: 0
; COMPUTE_PGM_RSRC2:TGID_X_EN: 1
; COMPUTE_PGM_RSRC2:TGID_Y_EN: 0
; COMPUTE_PGM_RSRC2:TGID_Z_EN: 0
; COMPUTE_PGM_RSRC2:TIDIG_COMP_CNT: 0
	.section	.text._ZN7rocprim17ROCPRIM_304000_NS6detail20lookback_scan_kernelILNS1_25lookback_scan_determinismE0ELb0ENS1_19wrapped_scan_configINS0_14default_configEN3c107complexIdEEEEPKS8_PS8_St10multipliesIS8_ES8_S8_NS1_19lookback_scan_stateIS8_Lb0ELb0EEEEEvT2_T3_mT5_T4_T7_jPT6_SN_bb,"axG",@progbits,_ZN7rocprim17ROCPRIM_304000_NS6detail20lookback_scan_kernelILNS1_25lookback_scan_determinismE0ELb0ENS1_19wrapped_scan_configINS0_14default_configEN3c107complexIdEEEEPKS8_PS8_St10multipliesIS8_ES8_S8_NS1_19lookback_scan_stateIS8_Lb0ELb0EEEEEvT2_T3_mT5_T4_T7_jPT6_SN_bb,comdat
	.protected	_ZN7rocprim17ROCPRIM_304000_NS6detail20lookback_scan_kernelILNS1_25lookback_scan_determinismE0ELb0ENS1_19wrapped_scan_configINS0_14default_configEN3c107complexIdEEEEPKS8_PS8_St10multipliesIS8_ES8_S8_NS1_19lookback_scan_stateIS8_Lb0ELb0EEEEEvT2_T3_mT5_T4_T7_jPT6_SN_bb ; -- Begin function _ZN7rocprim17ROCPRIM_304000_NS6detail20lookback_scan_kernelILNS1_25lookback_scan_determinismE0ELb0ENS1_19wrapped_scan_configINS0_14default_configEN3c107complexIdEEEEPKS8_PS8_St10multipliesIS8_ES8_S8_NS1_19lookback_scan_stateIS8_Lb0ELb0EEEEEvT2_T3_mT5_T4_T7_jPT6_SN_bb
	.globl	_ZN7rocprim17ROCPRIM_304000_NS6detail20lookback_scan_kernelILNS1_25lookback_scan_determinismE0ELb0ENS1_19wrapped_scan_configINS0_14default_configEN3c107complexIdEEEEPKS8_PS8_St10multipliesIS8_ES8_S8_NS1_19lookback_scan_stateIS8_Lb0ELb0EEEEEvT2_T3_mT5_T4_T7_jPT6_SN_bb
	.p2align	8
	.type	_ZN7rocprim17ROCPRIM_304000_NS6detail20lookback_scan_kernelILNS1_25lookback_scan_determinismE0ELb0ENS1_19wrapped_scan_configINS0_14default_configEN3c107complexIdEEEEPKS8_PS8_St10multipliesIS8_ES8_S8_NS1_19lookback_scan_stateIS8_Lb0ELb0EEEEEvT2_T3_mT5_T4_T7_jPT6_SN_bb,@function
_ZN7rocprim17ROCPRIM_304000_NS6detail20lookback_scan_kernelILNS1_25lookback_scan_determinismE0ELb0ENS1_19wrapped_scan_configINS0_14default_configEN3c107complexIdEEEEPKS8_PS8_St10multipliesIS8_ES8_S8_NS1_19lookback_scan_stateIS8_Lb0ELb0EEEEEvT2_T3_mT5_T4_T7_jPT6_SN_bb: ; @_ZN7rocprim17ROCPRIM_304000_NS6detail20lookback_scan_kernelILNS1_25lookback_scan_determinismE0ELb0ENS1_19wrapped_scan_configINS0_14default_configEN3c107complexIdEEEEPKS8_PS8_St10multipliesIS8_ES8_S8_NS1_19lookback_scan_stateIS8_Lb0ELb0EEEEEvT2_T3_mT5_T4_T7_jPT6_SN_bb
; %bb.0:
	s_load_dword s2, s[4:5], 0x50
	s_load_dwordx4 s[8:11], s[4:5], 0x0
	s_load_dwordx2 s[0:1], s[4:5], 0x10
	s_load_dwordx4 s[12:15], s[4:5], 0x38
	s_load_dwordx2 s[24:25], s[4:5], 0x48
	s_waitcnt lgkmcnt(0)
	s_add_i32 s7, s2, -1
	s_mul_i32 s16, s7, 0x3c0
	s_sub_u32 s26, s0, s16
	s_subb_u32 s27, s1, 0
	s_mov_b32 s3, 0
	s_mul_i32 s2, s6, 0x3c0
	s_cmp_lg_u32 s6, s7
	s_cselect_b64 s[20:21], -1, 0
	s_lshl_b64 s[22:23], s[2:3], 4
	s_add_u32 s2, s8, s22
	s_addc_u32 s3, s9, s23
	s_mov_b64 s[0:1], -1
	s_and_b64 vcc, exec, s[20:21]
	v_lshlrev_b32_e32 v129, 4, v0
	s_cbranch_vccz .LBB66_2
; %bb.1:
	v_mov_b32_e32 v1, s3
	v_add_co_u32_e32 v51, vcc, s2, v129
	v_addc_co_u32_e32 v52, vcc, 0, v1, vcc
	v_add_co_u32_e32 v33, vcc, 0x1000, v51
	v_addc_co_u32_e32 v34, vcc, 0, v52, vcc
	;; [unrolled: 2-line block ×4, first 2 shown]
	global_load_dwordx4 v[1:4], v129, s[2:3]
	global_load_dwordx4 v[5:8], v129, s[2:3] offset:1024
	global_load_dwordx4 v[9:12], v129, s[2:3] offset:2048
	;; [unrolled: 1-line block ×3, first 2 shown]
	global_load_dwordx4 v[17:20], v[33:34], off
	global_load_dwordx4 v[21:24], v[33:34], off offset:1024
	global_load_dwordx4 v[25:28], v[33:34], off offset:2048
	;; [unrolled: 1-line block ×3, first 2 shown]
	s_nop 0
	global_load_dwordx4 v[33:36], v[49:50], off
	global_load_dwordx4 v[37:40], v[49:50], off offset:1024
	global_load_dwordx4 v[41:44], v[49:50], off offset:2048
	global_load_dwordx4 v[45:48], v[49:50], off offset:3072
	s_nop 0
	global_load_dwordx4 v[49:52], v[61:62], off
	global_load_dwordx4 v[53:56], v[61:62], off offset:1024
	global_load_dwordx4 v[57:60], v[61:62], off offset:2048
	s_mov_b64 s[0:1], 0
	s_waitcnt vmcnt(14)
	ds_write_b128 v129, v[1:4]
	s_waitcnt vmcnt(13)
	ds_write_b128 v129, v[5:8] offset:1024
	s_waitcnt vmcnt(12)
	ds_write_b128 v129, v[9:12] offset:2048
	;; [unrolled: 2-line block ×14, first 2 shown]
	s_waitcnt lgkmcnt(0)
	; wave barrier
.LBB66_2:
	s_andn2_b64 vcc, exec, s[0:1]
	v_cmp_gt_u32_e64 s[0:1], s26, v0
	s_cbranch_vccnz .LBB66_34
; %bb.3:
	s_load_dwordx4 s[16:19], s[2:3], 0x0
	v_mov_b32_e32 v1, s3
	v_add_co_u32_e32 v61, vcc, s2, v129
	v_addc_co_u32_e32 v62, vcc, 0, v1, vcc
	s_waitcnt lgkmcnt(0)
	v_mov_b32_e32 v3, s18
	v_mov_b32_e32 v1, s16
	v_mov_b32_e32 v4, s19
	v_mov_b32_e32 v2, s17
	s_and_saveexec_b64 s[2:3], s[0:1]
	s_cbranch_execz .LBB66_5
; %bb.4:
	global_load_dwordx4 v[1:4], v[61:62], off
.LBB66_5:
	s_or_b64 exec, exec, s[2:3]
	v_or_b32_e32 v5, 64, v0
	v_cmp_gt_u32_e32 vcc, s26, v5
	v_mov_b32_e32 v7, s18
	v_mov_b32_e32 v5, s16
	v_mov_b32_e32 v8, s19
	v_mov_b32_e32 v6, s17
	s_and_saveexec_b64 s[0:1], vcc
	s_cbranch_execz .LBB66_7
; %bb.6:
	global_load_dwordx4 v[5:8], v[61:62], off offset:1024
.LBB66_7:
	s_or_b64 exec, exec, s[0:1]
	v_or_b32_e32 v9, 0x80, v0
	v_cmp_gt_u32_e32 vcc, s26, v9
	v_mov_b32_e32 v11, s18
	v_mov_b32_e32 v9, s16
	v_mov_b32_e32 v12, s19
	v_mov_b32_e32 v10, s17
	s_and_saveexec_b64 s[0:1], vcc
	s_cbranch_execz .LBB66_9
; %bb.8:
	global_load_dwordx4 v[9:12], v[61:62], off offset:2048
.LBB66_9:
	;; [unrolled: 12-line block ×3, first 2 shown]
	s_or_b64 exec, exec, s[0:1]
	v_or_b32_e32 v17, 0x100, v0
	v_cmp_gt_u32_e32 vcc, s26, v17
	v_mov_b32_e32 v20, s19
	v_mov_b32_e32 v18, s17
	;; [unrolled: 1-line block ×4, first 2 shown]
	s_and_saveexec_b64 s[0:1], vcc
	s_cbranch_execz .LBB66_13
; %bb.12:
	v_add_co_u32_e32 v17, vcc, 0x1000, v61
	v_addc_co_u32_e32 v18, vcc, 0, v62, vcc
	global_load_dwordx4 v[17:20], v[17:18], off
.LBB66_13:
	s_or_b64 exec, exec, s[0:1]
	v_or_b32_e32 v21, 0x140, v0
	v_cmp_gt_u32_e32 vcc, s26, v21
	v_mov_b32_e32 v24, s19
	v_mov_b32_e32 v22, s17
	v_mov_b32_e32 v23, s18
	v_mov_b32_e32 v21, s16
	s_and_saveexec_b64 s[0:1], vcc
	s_cbranch_execz .LBB66_15
; %bb.14:
	v_add_co_u32_e32 v21, vcc, 0x1000, v61
	v_addc_co_u32_e32 v22, vcc, 0, v62, vcc
	global_load_dwordx4 v[21:24], v[21:22], off offset:1024
.LBB66_15:
	s_or_b64 exec, exec, s[0:1]
	v_or_b32_e32 v25, 0x180, v0
	v_cmp_gt_u32_e32 vcc, s26, v25
	v_mov_b32_e32 v28, s19
	v_mov_b32_e32 v26, s17
	v_mov_b32_e32 v27, s18
	v_mov_b32_e32 v25, s16
	s_and_saveexec_b64 s[0:1], vcc
	s_cbranch_execz .LBB66_17
; %bb.16:
	v_add_co_u32_e32 v25, vcc, 0x1000, v61
	v_addc_co_u32_e32 v26, vcc, 0, v62, vcc
	global_load_dwordx4 v[25:28], v[25:26], off offset:2048
.LBB66_17:
	;; [unrolled: 14-line block ×3, first 2 shown]
	s_or_b64 exec, exec, s[0:1]
	v_or_b32_e32 v33, 0x200, v0
	v_cmp_gt_u32_e32 vcc, s26, v33
	v_mov_b32_e32 v36, s19
	v_mov_b32_e32 v34, s17
	;; [unrolled: 1-line block ×4, first 2 shown]
	s_and_saveexec_b64 s[0:1], vcc
	s_cbranch_execz .LBB66_21
; %bb.20:
	v_add_co_u32_e32 v33, vcc, 0x2000, v61
	v_addc_co_u32_e32 v34, vcc, 0, v62, vcc
	global_load_dwordx4 v[33:36], v[33:34], off
.LBB66_21:
	s_or_b64 exec, exec, s[0:1]
	v_or_b32_e32 v37, 0x240, v0
	v_cmp_gt_u32_e32 vcc, s26, v37
	v_mov_b32_e32 v40, s19
	v_mov_b32_e32 v38, s17
	v_mov_b32_e32 v39, s18
	v_mov_b32_e32 v37, s16
	s_and_saveexec_b64 s[0:1], vcc
	s_cbranch_execz .LBB66_23
; %bb.22:
	v_add_co_u32_e32 v37, vcc, 0x2000, v61
	v_addc_co_u32_e32 v38, vcc, 0, v62, vcc
	global_load_dwordx4 v[37:40], v[37:38], off offset:1024
.LBB66_23:
	s_or_b64 exec, exec, s[0:1]
	v_or_b32_e32 v41, 0x280, v0
	v_cmp_gt_u32_e32 vcc, s26, v41
	v_mov_b32_e32 v44, s19
	v_mov_b32_e32 v42, s17
	v_mov_b32_e32 v43, s18
	v_mov_b32_e32 v41, s16
	s_and_saveexec_b64 s[0:1], vcc
	s_cbranch_execz .LBB66_25
; %bb.24:
	v_add_co_u32_e32 v41, vcc, 0x2000, v61
	v_addc_co_u32_e32 v42, vcc, 0, v62, vcc
	global_load_dwordx4 v[41:44], v[41:42], off offset:2048
.LBB66_25:
	;; [unrolled: 14-line block ×3, first 2 shown]
	s_or_b64 exec, exec, s[0:1]
	v_or_b32_e32 v49, 0x300, v0
	v_cmp_gt_u32_e32 vcc, s26, v49
	v_mov_b32_e32 v52, s19
	v_mov_b32_e32 v50, s17
	;; [unrolled: 1-line block ×4, first 2 shown]
	s_and_saveexec_b64 s[0:1], vcc
	s_cbranch_execz .LBB66_29
; %bb.28:
	v_add_co_u32_e32 v49, vcc, 0x3000, v61
	v_addc_co_u32_e32 v50, vcc, 0, v62, vcc
	global_load_dwordx4 v[49:52], v[49:50], off
.LBB66_29:
	s_or_b64 exec, exec, s[0:1]
	v_or_b32_e32 v53, 0x340, v0
	v_cmp_gt_u32_e32 vcc, s26, v53
	v_mov_b32_e32 v56, s19
	v_mov_b32_e32 v54, s17
	;; [unrolled: 1-line block ×4, first 2 shown]
	s_and_saveexec_b64 s[0:1], vcc
	s_cbranch_execz .LBB66_31
; %bb.30:
	v_add_co_u32_e32 v53, vcc, 0x3000, v61
	v_addc_co_u32_e32 v54, vcc, 0, v62, vcc
	global_load_dwordx4 v[53:56], v[53:54], off offset:1024
.LBB66_31:
	s_or_b64 exec, exec, s[0:1]
	v_or_b32_e32 v57, 0x380, v0
	v_cmp_gt_u32_e32 vcc, s26, v57
	v_mov_b32_e32 v60, s19
	v_mov_b32_e32 v58, s17
	;; [unrolled: 1-line block ×4, first 2 shown]
	s_and_saveexec_b64 s[0:1], vcc
	s_cbranch_execz .LBB66_33
; %bb.32:
	v_add_co_u32_e32 v57, vcc, 0x3000, v61
	v_addc_co_u32_e32 v58, vcc, 0, v62, vcc
	global_load_dwordx4 v[57:60], v[57:58], off offset:2048
.LBB66_33:
	s_or_b64 exec, exec, s[0:1]
	s_waitcnt vmcnt(0)
	ds_write_b128 v129, v[1:4]
	ds_write_b128 v129, v[5:8] offset:1024
	ds_write_b128 v129, v[9:12] offset:2048
	;; [unrolled: 1-line block ×14, first 2 shown]
	s_waitcnt lgkmcnt(0)
	; wave barrier
.LBB66_34:
	v_mul_u32_u24_e32 v130, 0xf0, v0
	ds_read_b128 v[1:4], v130
	ds_read_b128 v[13:16], v130 offset:16
	ds_read_b128 v[9:12], v130 offset:32
	;; [unrolled: 1-line block ×14, first 2 shown]
	s_cmp_lg_u32 s6, 0
	v_mbcnt_lo_u32_b32 v121, -1, 0
	s_waitcnt lgkmcnt(0)
	; wave barrier
	s_cbranch_scc0 .LBB66_92
; %bb.35:
	v_mul_f64 v[61:62], v[1:2], v[15:16]
	v_mul_f64 v[63:64], v[3:4], v[15:16]
	v_mbcnt_hi_u32_b32 v78, -1, v121
	v_and_b32_e32 v71, 15, v78
	v_cmp_ne_u32_e32 vcc, 0, v71
	v_fma_f64 v[61:62], v[3:4], v[13:14], v[61:62]
	v_fma_f64 v[63:64], v[1:2], v[13:14], -v[63:64]
	v_mul_f64 v[65:66], v[61:62], v[11:12]
	v_mul_f64 v[67:68], v[63:64], v[11:12]
	v_fma_f64 v[63:64], v[9:10], v[63:64], -v[65:66]
	v_fma_f64 v[61:62], v[9:10], v[61:62], v[67:68]
	v_mul_f64 v[65:66], v[63:64], v[7:8]
	v_mul_f64 v[67:68], v[61:62], v[7:8]
	v_fma_f64 v[61:62], v[5:6], v[61:62], v[65:66]
	v_fma_f64 v[63:64], v[5:6], v[63:64], -v[67:68]
	v_mul_f64 v[65:66], v[61:62], v[59:60]
	v_mul_f64 v[67:68], v[63:64], v[59:60]
	v_fma_f64 v[63:64], v[57:58], v[63:64], -v[65:66]
	v_fma_f64 v[61:62], v[57:58], v[61:62], v[67:68]
	v_mul_f64 v[65:66], v[63:64], v[51:52]
	v_mul_f64 v[67:68], v[61:62], v[51:52]
	;; [unrolled: 8-line block ×6, first 2 shown]
	v_fma_f64 v[65:66], v[17:18], v[61:62], v[65:66]
	v_fma_f64 v[61:62], v[17:18], v[63:64], -v[67:68]
	v_mul_f64 v[63:64], v[65:66], v[23:24]
	v_mul_f64 v[67:68], v[61:62], v[23:24]
	v_fma_f64 v[61:62], v[21:22], v[61:62], -v[63:64]
	v_fma_f64 v[63:64], v[21:22], v[65:66], v[67:68]
	s_nop 0
	v_mov_b32_dpp v67, v61 row_shr:1 row_mask:0xf bank_mask:0xf
	v_mov_b32_dpp v68, v62 row_shr:1 row_mask:0xf bank_mask:0xf
	;; [unrolled: 1-line block ×4, first 2 shown]
	v_mov_b32_e32 v66, v64
	v_mov_b32_e32 v65, v63
	s_and_saveexec_b64 s[0:1], vcc
	s_cbranch_execz .LBB66_37
; %bb.36:
	v_mul_f64 v[65:66], v[61:62], v[69:70]
	v_mul_f64 v[69:70], v[63:64], v[69:70]
	v_fma_f64 v[65:66], v[63:64], v[67:68], v[65:66]
	v_fma_f64 v[61:62], v[61:62], v[67:68], -v[69:70]
	v_mov_b32_e32 v63, v65
	v_mov_b32_e32 v64, v66
.LBB66_37:
	s_or_b64 exec, exec, s[0:1]
	v_mov_b32_dpp v67, v61 row_shr:2 row_mask:0xf bank_mask:0xf
	v_mov_b32_dpp v68, v62 row_shr:2 row_mask:0xf bank_mask:0xf
	v_mov_b32_dpp v69, v65 row_shr:2 row_mask:0xf bank_mask:0xf
	v_mov_b32_dpp v70, v66 row_shr:2 row_mask:0xf bank_mask:0xf
	v_cmp_lt_u32_e32 vcc, 1, v71
	s_and_saveexec_b64 s[0:1], vcc
	s_cbranch_execz .LBB66_39
; %bb.38:
	v_mul_f64 v[65:66], v[61:62], v[69:70]
	v_mul_f64 v[69:70], v[63:64], v[69:70]
	v_fma_f64 v[65:66], v[63:64], v[67:68], v[65:66]
	v_fma_f64 v[61:62], v[61:62], v[67:68], -v[69:70]
	v_mov_b32_e32 v63, v65
	v_mov_b32_e32 v64, v66
.LBB66_39:
	s_or_b64 exec, exec, s[0:1]
	v_mov_b32_dpp v67, v61 row_shr:4 row_mask:0xf bank_mask:0xf
	v_mov_b32_dpp v68, v62 row_shr:4 row_mask:0xf bank_mask:0xf
	v_mov_b32_dpp v69, v65 row_shr:4 row_mask:0xf bank_mask:0xf
	v_mov_b32_dpp v70, v66 row_shr:4 row_mask:0xf bank_mask:0xf
	v_cmp_lt_u32_e32 vcc, 3, v71
	;; [unrolled: 16-line block ×3, first 2 shown]
	s_and_saveexec_b64 s[0:1], vcc
	s_cbranch_execz .LBB66_43
; %bb.42:
	v_mul_f64 v[65:66], v[61:62], v[69:70]
	v_mul_f64 v[69:70], v[63:64], v[69:70]
	v_fma_f64 v[65:66], v[63:64], v[67:68], v[65:66]
	v_fma_f64 v[61:62], v[61:62], v[67:68], -v[69:70]
	v_mov_b32_e32 v63, v65
	v_mov_b32_e32 v64, v66
.LBB66_43:
	s_or_b64 exec, exec, s[0:1]
	v_and_b32_e32 v71, 16, v78
	v_mov_b32_dpp v67, v61 row_bcast:15 row_mask:0xf bank_mask:0xf
	v_mov_b32_dpp v68, v62 row_bcast:15 row_mask:0xf bank_mask:0xf
	;; [unrolled: 1-line block ×4, first 2 shown]
	v_cmp_ne_u32_e32 vcc, 0, v71
	s_and_saveexec_b64 s[0:1], vcc
	s_cbranch_execz .LBB66_45
; %bb.44:
	v_mul_f64 v[65:66], v[61:62], v[69:70]
	v_mul_f64 v[69:70], v[63:64], v[69:70]
	v_fma_f64 v[65:66], v[63:64], v[67:68], v[65:66]
	v_fma_f64 v[61:62], v[61:62], v[67:68], -v[69:70]
	v_mov_b32_e32 v63, v65
	v_mov_b32_e32 v64, v66
.LBB66_45:
	s_or_b64 exec, exec, s[0:1]
	v_mov_b32_dpp v67, v61 row_bcast:31 row_mask:0xf bank_mask:0xf
	v_mov_b32_dpp v68, v62 row_bcast:31 row_mask:0xf bank_mask:0xf
	;; [unrolled: 1-line block ×4, first 2 shown]
	v_cmp_lt_u32_e32 vcc, 31, v78
	s_and_saveexec_b64 s[0:1], vcc
	s_cbranch_execz .LBB66_47
; %bb.46:
	v_mul_f64 v[69:70], v[61:62], v[65:66]
	v_mul_f64 v[65:66], v[63:64], v[65:66]
	v_fma_f64 v[63:64], v[63:64], v[67:68], v[69:70]
	v_fma_f64 v[61:62], v[61:62], v[67:68], -v[65:66]
.LBB66_47:
	s_or_b64 exec, exec, s[0:1]
	v_cmp_eq_u32_e32 vcc, 63, v0
	s_and_saveexec_b64 s[0:1], vcc
; %bb.48:
	v_mov_b32_e32 v65, 0
	ds_write_b128 v65, v[61:64]
; %bb.49:
	s_or_b64 exec, exec, s[0:1]
	v_subrev_co_u32_e64 v65, s[0:1], 1, v78
	v_and_b32_e32 v66, 64, v78
	v_cmp_lt_i32_e32 vcc, v65, v66
	v_cndmask_b32_e32 v65, v65, v78, vcc
	v_lshlrev_b32_e32 v65, 2, v65
	v_mov_b32_e32 v66, 0
	s_waitcnt lgkmcnt(0)
	; wave barrier
	ds_bpermute_b32 v73, v65, v61
	ds_bpermute_b32 v74, v65, v62
	;; [unrolled: 1-line block ×4, first 2 shown]
	ds_read_b128 v[61:64], v66
	s_and_saveexec_b64 s[2:3], s[0:1]
	s_cbranch_execz .LBB66_51
; %bb.50:
	s_add_i32 s8, s6, 64
	s_mov_b32 s9, 0
	s_lshl_b64 s[16:17], s[8:9], 4
	s_add_u32 s16, s12, s16
	s_addc_u32 s17, s13, s17
	v_mov_b32_e32 v65, 1
	v_mov_b32_e32 v67, s8
	s_waitcnt lgkmcnt(0)
	global_store_dwordx4 v66, v[61:64], s[16:17]
	s_waitcnt vmcnt(0)
	buffer_wbinvl1_vol
	global_store_byte v67, v65, s[24:25]
.LBB66_51:
	s_or_b64 exec, exec, s[2:3]
	v_xad_u32 v77, v78, -1, s6
	v_add_u32_e32 v65, 64, v77
	global_load_ubyte v87, v65, s[24:25] glc
	s_waitcnt vmcnt(0)
	v_cmp_eq_u16_e32 vcc, 0, v87
	s_and_saveexec_b64 s[2:3], vcc
	s_cbranch_execz .LBB66_55
; %bb.52:
	v_mov_b32_e32 v68, s25
	v_add_co_u32_e32 v67, vcc, s24, v65
	v_addc_co_u32_e32 v68, vcc, 0, v68, vcc
	s_mov_b64 s[8:9], 0
.LBB66_53:                              ; =>This Inner Loop Header: Depth=1
	global_load_ubyte v87, v[67:68], off glc
	s_waitcnt vmcnt(0)
	v_cmp_ne_u16_e32 vcc, 0, v87
	s_or_b64 s[8:9], vcc, s[8:9]
	s_andn2_b64 exec, exec, s[8:9]
	s_cbranch_execnz .LBB66_53
; %bb.54:
	s_or_b64 exec, exec, s[8:9]
.LBB66_55:
	s_or_b64 exec, exec, s[2:3]
	v_mov_b32_e32 v67, s15
	v_mov_b32_e32 v68, s13
	v_cmp_eq_u16_e32 vcc, 1, v87
	v_cndmask_b32_e32 v67, v67, v68, vcc
	v_mov_b32_e32 v68, s14
	v_mov_b32_e32 v69, s12
	v_lshlrev_b64 v[65:66], 4, v[65:66]
	v_cndmask_b32_e32 v68, v68, v69, vcc
	v_add_co_u32_e32 v65, vcc, v68, v65
	v_addc_co_u32_e32 v66, vcc, v67, v66, vcc
	s_waitcnt lgkmcnt(0)
	buffer_wbinvl1_vol
	global_load_dwordx4 v[69:72], v[65:66], off
	v_and_b32_e32 v84, 63, v78
	v_lshlrev_b64 v[79:80], v78, -1
	v_cmp_ne_u32_e64 s[2:3], 63, v84
	v_cmp_eq_u16_e32 vcc, 2, v87
	v_addc_co_u32_e64 v65, s[2:3], 0, v78, s[2:3]
	v_and_b32_e32 v66, vcc_hi, v80
	v_and_b32_e32 v67, vcc_lo, v79
	v_lshlrev_b32_e32 v88, 2, v65
	v_or_b32_e32 v65, 0x80000000, v66
	v_ffbl_b32_e32 v66, v67
	v_ffbl_b32_e32 v65, v65
	v_add_u32_e32 v65, 32, v65
	v_min_u32_e32 v83, v66, v65
	v_add_u32_e32 v89, 1, v78
	v_cmp_le_u32_e32 vcc, v89, v83
	s_waitcnt vmcnt(0)
	ds_bpermute_b32 v67, v88, v69
	ds_bpermute_b32 v68, v88, v70
	;; [unrolled: 1-line block ×4, first 2 shown]
	v_mov_b32_e32 v66, v70
	v_mov_b32_e32 v65, v69
	s_and_saveexec_b64 s[2:3], vcc
	s_cbranch_execz .LBB66_57
; %bb.56:
	s_waitcnt lgkmcnt(0)
	v_mul_f64 v[65:66], v[71:72], v[81:82]
	v_mul_f64 v[81:82], v[69:70], v[81:82]
	v_fma_f64 v[65:66], v[69:70], v[67:68], -v[65:66]
	v_fma_f64 v[71:72], v[71:72], v[67:68], v[81:82]
	v_mov_b32_e32 v70, v66
	v_mov_b32_e32 v69, v65
.LBB66_57:
	s_or_b64 exec, exec, s[2:3]
	v_cmp_gt_u32_e32 vcc, 62, v84
	s_waitcnt lgkmcnt(3)
	v_cndmask_b32_e64 v67, 0, 2, vcc
	v_add_lshl_u32 v90, v67, v78, 2
	ds_bpermute_b32 v67, v90, v65
	s_waitcnt lgkmcnt(3)
	ds_bpermute_b32 v68, v90, v66
	s_waitcnt lgkmcnt(3)
	ds_bpermute_b32 v81, v90, v71
	s_waitcnt lgkmcnt(3)
	ds_bpermute_b32 v82, v90, v72
	v_add_u32_e32 v91, 2, v78
	v_cmp_le_u32_e32 vcc, v91, v83
	s_and_saveexec_b64 s[2:3], vcc
	s_cbranch_execz .LBB66_59
; %bb.58:
	s_waitcnt lgkmcnt(0)
	v_mul_f64 v[65:66], v[71:72], v[81:82]
	v_mul_f64 v[81:82], v[69:70], v[81:82]
	v_fma_f64 v[65:66], v[69:70], v[67:68], -v[65:66]
	v_fma_f64 v[71:72], v[71:72], v[67:68], v[81:82]
	v_mov_b32_e32 v70, v66
	v_mov_b32_e32 v69, v65
.LBB66_59:
	s_or_b64 exec, exec, s[2:3]
	v_cmp_gt_u32_e32 vcc, 60, v84
	s_waitcnt lgkmcnt(3)
	v_cndmask_b32_e64 v67, 0, 4, vcc
	v_add_lshl_u32 v92, v67, v78, 2
	ds_bpermute_b32 v67, v92, v65
	s_waitcnt lgkmcnt(3)
	ds_bpermute_b32 v68, v92, v66
	s_waitcnt lgkmcnt(3)
	ds_bpermute_b32 v81, v92, v71
	s_waitcnt lgkmcnt(3)
	ds_bpermute_b32 v82, v92, v72
	v_add_u32_e32 v93, 4, v78
	v_cmp_le_u32_e32 vcc, v93, v83
	;; [unrolled: 25-line block ×4, first 2 shown]
	s_and_saveexec_b64 s[2:3], vcc
	s_cbranch_execz .LBB66_65
; %bb.64:
	s_waitcnt lgkmcnt(0)
	v_mul_f64 v[65:66], v[71:72], v[81:82]
	v_mul_f64 v[81:82], v[69:70], v[81:82]
	v_fma_f64 v[65:66], v[69:70], v[67:68], -v[65:66]
	v_fma_f64 v[71:72], v[71:72], v[67:68], v[81:82]
	v_mov_b32_e32 v70, v66
	v_mov_b32_e32 v69, v65
.LBB66_65:
	s_or_b64 exec, exec, s[2:3]
	s_waitcnt lgkmcnt(3)
	v_mov_b32_e32 v67, 0x80
	v_lshl_or_b32 v98, v78, 2, v67
	ds_bpermute_b32 v65, v98, v65
	ds_bpermute_b32 v66, v98, v66
	;; [unrolled: 1-line block ×3, first 2 shown]
	s_waitcnt lgkmcnt(5)
	ds_bpermute_b32 v68, v98, v72
	v_add_u32_e32 v99, 32, v78
	v_cmp_le_u32_e32 vcc, v99, v83
	s_and_saveexec_b64 s[2:3], vcc
	s_cbranch_execz .LBB66_67
; %bb.66:
	s_waitcnt lgkmcnt(0)
	v_mul_f64 v[81:82], v[71:72], v[67:68]
	v_mul_f64 v[67:68], v[69:70], v[67:68]
	v_fma_f64 v[69:70], v[69:70], v[65:66], -v[81:82]
	v_fma_f64 v[71:72], v[71:72], v[65:66], v[67:68]
.LBB66_67:
	s_or_b64 exec, exec, s[2:3]
	v_mov_b32_e32 v78, 0
	v_mov_b32_e32 v100, 2
	s_branch .LBB66_70
.LBB66_68:                              ;   in Loop: Header=BB66_70 Depth=1
	s_or_b64 exec, exec, s[2:3]
	s_waitcnt lgkmcnt(2)
	v_mul_f64 v[81:82], v[67:68], v[71:72]
	s_waitcnt lgkmcnt(0)
	v_mul_f64 v[83:84], v[67:68], v[69:70]
	v_subrev_u32_e32 v77, 64, v77
	s_mov_b64 s[2:3], 0
	v_fma_f64 v[69:70], v[65:66], v[69:70], -v[81:82]
	v_fma_f64 v[71:72], v[65:66], v[71:72], v[83:84]
.LBB66_69:                              ;   in Loop: Header=BB66_70 Depth=1
	s_and_b64 vcc, exec, s[2:3]
	s_cbranch_vccnz .LBB66_87
.LBB66_70:                              ; =>This Loop Header: Depth=1
                                        ;     Child Loop BB66_73 Depth 2
	s_waitcnt lgkmcnt(2)
	v_mov_b32_e32 v65, v69
	s_waitcnt lgkmcnt(0)
	v_mov_b32_e32 v67, v71
	v_cmp_ne_u16_sdwa s[2:3], v87, v100 src0_sel:BYTE_0 src1_sel:DWORD
	v_mov_b32_e32 v66, v70
	v_mov_b32_e32 v68, v72
	s_cmp_lg_u64 s[2:3], exec
	s_mov_b64 s[2:3], -1
                                        ; implicit-def: $vgpr87
                                        ; implicit-def: $vgpr69_vgpr70
	s_cbranch_scc1 .LBB66_69
; %bb.71:                               ;   in Loop: Header=BB66_70 Depth=1
	global_load_ubyte v87, v77, s[24:25] glc
	s_waitcnt vmcnt(0)
	v_cmp_eq_u16_e32 vcc, 0, v87
	s_and_saveexec_b64 s[2:3], vcc
	s_cbranch_execz .LBB66_75
; %bb.72:                               ;   in Loop: Header=BB66_70 Depth=1
	v_mov_b32_e32 v70, s25
	v_add_co_u32_e32 v69, vcc, s24, v77
	v_addc_co_u32_e32 v70, vcc, 0, v70, vcc
	s_mov_b64 s[8:9], 0
.LBB66_73:                              ;   Parent Loop BB66_70 Depth=1
                                        ; =>  This Inner Loop Header: Depth=2
	global_load_ubyte v87, v[69:70], off glc
	s_waitcnt vmcnt(0)
	v_cmp_ne_u16_e32 vcc, 0, v87
	s_or_b64 s[8:9], vcc, s[8:9]
	s_andn2_b64 exec, exec, s[8:9]
	s_cbranch_execnz .LBB66_73
; %bb.74:                               ;   in Loop: Header=BB66_70 Depth=1
	s_or_b64 exec, exec, s[8:9]
.LBB66_75:                              ;   in Loop: Header=BB66_70 Depth=1
	s_or_b64 exec, exec, s[2:3]
	v_mov_b32_e32 v69, s15
	v_mov_b32_e32 v70, s13
	v_cmp_eq_u16_e32 vcc, 1, v87
	v_cndmask_b32_e32 v71, v69, v70, vcc
	v_mov_b32_e32 v69, s14
	v_mov_b32_e32 v70, s12
	v_cndmask_b32_e32 v72, v69, v70, vcc
	v_lshlrev_b64 v[69:70], 4, v[77:78]
	buffer_wbinvl1_vol
	v_add_co_u32_e32 v69, vcc, v72, v69
	v_addc_co_u32_e32 v70, vcc, v71, v70, vcc
	global_load_dwordx4 v[69:72], v[69:70], off
	v_cmp_eq_u16_e32 vcc, 2, v87
	v_and_b32_e32 v81, vcc_hi, v80
	v_or_b32_e32 v81, 0x80000000, v81
	v_and_b32_e32 v82, vcc_lo, v79
	v_ffbl_b32_e32 v81, v81
	v_ffbl_b32_e32 v82, v82
	v_add_u32_e32 v81, 32, v81
	v_min_u32_e32 v101, v82, v81
	v_cmp_le_u32_e32 vcc, v89, v101
	s_waitcnt vmcnt(0)
	ds_bpermute_b32 v83, v88, v69
	ds_bpermute_b32 v84, v88, v70
	;; [unrolled: 1-line block ×4, first 2 shown]
	v_mov_b32_e32 v82, v70
	v_mov_b32_e32 v81, v69
	s_and_saveexec_b64 s[2:3], vcc
	s_cbranch_execz .LBB66_77
; %bb.76:                               ;   in Loop: Header=BB66_70 Depth=1
	s_waitcnt lgkmcnt(0)
	v_mul_f64 v[81:82], v[71:72], v[85:86]
	v_mul_f64 v[85:86], v[69:70], v[85:86]
	v_fma_f64 v[81:82], v[69:70], v[83:84], -v[81:82]
	v_fma_f64 v[71:72], v[71:72], v[83:84], v[85:86]
	v_mov_b32_e32 v69, v81
	v_mov_b32_e32 v70, v82
.LBB66_77:                              ;   in Loop: Header=BB66_70 Depth=1
	s_or_b64 exec, exec, s[2:3]
	s_waitcnt lgkmcnt(3)
	ds_bpermute_b32 v83, v90, v81
	s_waitcnt lgkmcnt(3)
	ds_bpermute_b32 v84, v90, v82
	s_waitcnt lgkmcnt(3)
	ds_bpermute_b32 v85, v90, v71
	s_waitcnt lgkmcnt(3)
	ds_bpermute_b32 v86, v90, v72
	v_cmp_le_u32_e32 vcc, v91, v101
	s_and_saveexec_b64 s[2:3], vcc
	s_cbranch_execz .LBB66_79
; %bb.78:                               ;   in Loop: Header=BB66_70 Depth=1
	s_waitcnt lgkmcnt(0)
	v_mul_f64 v[81:82], v[71:72], v[85:86]
	v_mul_f64 v[85:86], v[69:70], v[85:86]
	v_fma_f64 v[81:82], v[69:70], v[83:84], -v[81:82]
	v_fma_f64 v[71:72], v[71:72], v[83:84], v[85:86]
	v_mov_b32_e32 v69, v81
	v_mov_b32_e32 v70, v82
.LBB66_79:                              ;   in Loop: Header=BB66_70 Depth=1
	s_or_b64 exec, exec, s[2:3]
	s_waitcnt lgkmcnt(3)
	ds_bpermute_b32 v83, v92, v81
	s_waitcnt lgkmcnt(3)
	ds_bpermute_b32 v84, v92, v82
	s_waitcnt lgkmcnt(3)
	ds_bpermute_b32 v85, v92, v71
	s_waitcnt lgkmcnt(3)
	ds_bpermute_b32 v86, v92, v72
	v_cmp_le_u32_e32 vcc, v93, v101
	;; [unrolled: 21-line block ×4, first 2 shown]
	s_and_saveexec_b64 s[2:3], vcc
	s_cbranch_execz .LBB66_85
; %bb.84:                               ;   in Loop: Header=BB66_70 Depth=1
	s_waitcnt lgkmcnt(0)
	v_mul_f64 v[81:82], v[71:72], v[85:86]
	v_mul_f64 v[85:86], v[69:70], v[85:86]
	v_fma_f64 v[81:82], v[69:70], v[83:84], -v[81:82]
	v_fma_f64 v[71:72], v[71:72], v[83:84], v[85:86]
	v_mov_b32_e32 v69, v81
	v_mov_b32_e32 v70, v82
.LBB66_85:                              ;   in Loop: Header=BB66_70 Depth=1
	s_or_b64 exec, exec, s[2:3]
	ds_bpermute_b32 v81, v98, v81
	ds_bpermute_b32 v82, v98, v82
	s_waitcnt lgkmcnt(5)
	ds_bpermute_b32 v83, v98, v71
	s_waitcnt lgkmcnt(5)
	ds_bpermute_b32 v84, v98, v72
	v_cmp_le_u32_e32 vcc, v99, v101
	s_and_saveexec_b64 s[2:3], vcc
	s_cbranch_execz .LBB66_68
; %bb.86:                               ;   in Loop: Header=BB66_70 Depth=1
	s_waitcnt lgkmcnt(0)
	v_mul_f64 v[85:86], v[71:72], v[83:84]
	v_mul_f64 v[83:84], v[69:70], v[83:84]
	v_fma_f64 v[69:70], v[69:70], v[81:82], -v[85:86]
	v_fma_f64 v[71:72], v[71:72], v[81:82], v[83:84]
	s_branch .LBB66_68
.LBB66_87:
	s_and_saveexec_b64 s[2:3], s[0:1]
	s_cbranch_execz .LBB66_89
; %bb.88:
	v_mul_f64 v[69:70], v[63:64], v[67:68]
	v_mul_f64 v[63:64], v[63:64], v[65:66]
	s_add_i32 s0, s6, 64
	s_mov_b32 s1, 0
	s_lshl_b64 s[6:7], s[0:1], 4
	v_fma_f64 v[69:70], v[61:62], v[65:66], -v[69:70]
	v_fma_f64 v[71:72], v[61:62], v[67:68], v[63:64]
	v_mov_b32_e32 v63, s0
	s_add_u32 s0, s14, s6
	v_mov_b32_e32 v61, 0
	v_mov_b32_e32 v62, 2
	s_addc_u32 s1, s15, s7
	global_store_dwordx4 v61, v[69:72], s[0:1]
	s_waitcnt vmcnt(0)
	buffer_wbinvl1_vol
	global_store_byte v63, v62, s[24:25]
.LBB66_89:
	s_or_b64 exec, exec, s[2:3]
	v_cmp_eq_u32_e32 vcc, 0, v0
	s_and_saveexec_b64 s[0:1], vcc
; %bb.90:
	v_mov_b32_e32 v61, 0
	ds_write_b128 v61, v[65:68]
; %bb.91:
	s_or_b64 exec, exec, s[0:1]
	v_mul_f64 v[61:62], v[1:2], v[75:76]
	v_mul_f64 v[63:64], v[3:4], v[75:76]
	s_waitcnt lgkmcnt(0)
	; wave barrier
	v_fma_f64 v[65:66], v[3:4], v[73:74], v[61:62]
	v_fma_f64 v[67:68], v[1:2], v[73:74], -v[63:64]
	v_mov_b32_e32 v61, 0
	ds_read_b128 v[61:64], v61
	v_cndmask_b32_e32 v66, v66, v4, vcc
	v_cndmask_b32_e32 v65, v65, v3, vcc
	;; [unrolled: 1-line block ×4, first 2 shown]
	s_waitcnt lgkmcnt(0)
	v_mul_f64 v[69:70], v[65:66], v[63:64]
	v_mul_f64 v[63:64], v[67:68], v[63:64]
	v_fma_f64 v[117:118], v[67:68], v[61:62], -v[69:70]
	v_fma_f64 v[119:120], v[65:66], v[61:62], v[63:64]
	v_mul_f64 v[61:62], v[15:16], v[117:118]
	v_mul_f64 v[65:66], v[15:16], v[119:120]
	v_fma_f64 v[63:64], v[13:14], v[119:120], v[61:62]
	v_fma_f64 v[61:62], v[13:14], v[117:118], -v[65:66]
	v_mul_f64 v[65:66], v[11:12], v[63:64]
	v_mul_f64 v[67:68], v[11:12], v[61:62]
	v_fma_f64 v[65:66], v[9:10], v[61:62], -v[65:66]
	v_fma_f64 v[67:68], v[9:10], v[63:64], v[67:68]
	v_mul_f64 v[69:70], v[7:8], v[65:66]
	v_mul_f64 v[73:74], v[7:8], v[67:68]
	v_fma_f64 v[71:72], v[5:6], v[67:68], v[69:70]
	v_fma_f64 v[69:70], v[5:6], v[65:66], -v[73:74]
	;; [unrolled: 8-line block ×7, first 2 shown]
	v_mul_f64 v[113:114], v[23:24], v[111:112]
	v_mul_f64 v[115:116], v[23:24], v[109:110]
	v_fma_f64 v[113:114], v[21:22], v[109:110], -v[113:114]
	v_fma_f64 v[115:116], v[21:22], v[111:112], v[115:116]
	s_load_dwordx4 s[16:19], s[4:5], 0x58
	s_branch .LBB66_114
.LBB66_92:
                                        ; implicit-def: $vgpr117_vgpr118
                                        ; implicit-def: $vgpr61_vgpr62
                                        ; implicit-def: $vgpr65_vgpr66
                                        ; implicit-def: $vgpr69_vgpr70
                                        ; implicit-def: $vgpr73_vgpr74
                                        ; implicit-def: $vgpr77_vgpr78
                                        ; implicit-def: $vgpr81_vgpr82
                                        ; implicit-def: $vgpr85_vgpr86
                                        ; implicit-def: $vgpr89_vgpr90
                                        ; implicit-def: $vgpr93_vgpr94
                                        ; implicit-def: $vgpr97_vgpr98
                                        ; implicit-def: $vgpr101_vgpr102
                                        ; implicit-def: $vgpr105_vgpr106
                                        ; implicit-def: $vgpr109_vgpr110
                                        ; implicit-def: $vgpr113_vgpr114
	s_load_dwordx4 s[16:19], s[4:5], 0x58
	s_cbranch_execz .LBB66_114
; %bb.93:
	s_load_dword s2, s[4:5], 0x68
	v_cmp_eq_u32_e32 vcc, 0, v0
	v_cmp_ne_u32_e64 s[0:1], 0, v0
	s_waitcnt lgkmcnt(0)
	s_bitcmp1_b32 s2, 0
	s_cselect_b64 s[2:3], -1, 0
	s_and_b64 s[6:7], vcc, s[2:3]
	s_and_saveexec_b64 s[2:3], s[6:7]
	s_cbranch_execz .LBB66_95
; %bb.94:
	v_mov_b32_e32 v61, 0
	global_load_dwordx4 v[61:64], v61, s[16:17]
	s_waitcnt vmcnt(0)
	v_mul_f64 v[65:66], v[3:4], v[63:64]
	v_mul_f64 v[63:64], v[1:2], v[63:64]
	v_fma_f64 v[1:2], v[1:2], v[61:62], -v[65:66]
	v_fma_f64 v[3:4], v[3:4], v[61:62], v[63:64]
.LBB66_95:
	s_or_b64 exec, exec, s[2:3]
	v_mul_f64 v[61:62], v[15:16], v[1:2]
	v_mul_f64 v[65:66], v[15:16], v[3:4]
	v_mbcnt_hi_u32_b32 v131, -1, v121
	v_and_b32_e32 v132, 15, v131
	v_cmp_ne_u32_e64 s[2:3], 0, v132
	v_fma_f64 v[63:64], v[13:14], v[3:4], v[61:62]
	v_fma_f64 v[61:62], v[13:14], v[1:2], -v[65:66]
	v_mul_f64 v[65:66], v[11:12], v[63:64]
	v_mul_f64 v[67:68], v[11:12], v[61:62]
	v_fma_f64 v[65:66], v[9:10], v[61:62], -v[65:66]
	v_fma_f64 v[67:68], v[9:10], v[63:64], v[67:68]
	v_mul_f64 v[69:70], v[7:8], v[65:66]
	v_mul_f64 v[73:74], v[7:8], v[67:68]
	v_fma_f64 v[71:72], v[5:6], v[67:68], v[69:70]
	v_fma_f64 v[69:70], v[5:6], v[65:66], -v[73:74]
	v_mul_f64 v[73:74], v[59:60], v[71:72]
	v_mul_f64 v[75:76], v[59:60], v[69:70]
	v_fma_f64 v[73:74], v[57:58], v[69:70], -v[73:74]
	v_fma_f64 v[75:76], v[57:58], v[71:72], v[75:76]
	v_mul_f64 v[77:78], v[51:52], v[73:74]
	v_mul_f64 v[81:82], v[51:52], v[75:76]
	;; [unrolled: 8-line block ×6, first 2 shown]
	v_fma_f64 v[111:112], v[17:18], v[107:108], v[109:110]
	v_fma_f64 v[109:110], v[17:18], v[105:106], -v[113:114]
	v_mul_f64 v[113:114], v[23:24], v[111:112]
	v_mul_f64 v[115:116], v[23:24], v[109:110]
	v_fma_f64 v[113:114], v[21:22], v[109:110], -v[113:114]
	v_fma_f64 v[115:116], v[21:22], v[111:112], v[115:116]
	v_mov_b32_e32 v118, v114
	v_mov_b32_e32 v120, v116
	v_mov_b32_dpp v125, v113 row_shr:1 row_mask:0xf bank_mask:0xf
	v_mov_b32_dpp v126, v114 row_shr:1 row_mask:0xf bank_mask:0xf
	;; [unrolled: 1-line block ×4, first 2 shown]
	v_mov_b32_e32 v117, v113
	v_mov_b32_e32 v119, v115
	v_mov_b32_e32 v122, v116
	v_mov_b32_e32 v121, v115
	v_mov_b32_e32 v124, v114
	v_mov_b32_e32 v123, v113
	s_and_saveexec_b64 s[6:7], s[2:3]
	s_cbranch_execz .LBB66_97
; %bb.96:
	v_mul_f64 v[117:118], v[113:114], v[127:128]
	v_mul_f64 v[121:122], v[115:116], v[127:128]
	v_fma_f64 v[119:120], v[115:116], v[125:126], v[117:118]
	v_fma_f64 v[117:118], v[113:114], v[125:126], -v[121:122]
	v_mov_b32_e32 v122, v120
	v_mov_b32_e32 v121, v119
	;; [unrolled: 1-line block ×4, first 2 shown]
.LBB66_97:
	s_or_b64 exec, exec, s[6:7]
	s_nop 0
	v_mov_b32_dpp v125, v123 row_shr:2 row_mask:0xf bank_mask:0xf
	v_mov_b32_dpp v126, v124 row_shr:2 row_mask:0xf bank_mask:0xf
	v_mov_b32_dpp v127, v121 row_shr:2 row_mask:0xf bank_mask:0xf
	v_mov_b32_dpp v128, v122 row_shr:2 row_mask:0xf bank_mask:0xf
	v_cmp_lt_u32_e64 s[2:3], 1, v132
	s_and_saveexec_b64 s[6:7], s[2:3]
	s_cbranch_execz .LBB66_99
; %bb.98:
	v_mul_f64 v[121:122], v[117:118], v[127:128]
	v_mul_f64 v[123:124], v[119:120], v[127:128]
	v_fma_f64 v[121:122], v[119:120], v[125:126], v[121:122]
	v_fma_f64 v[123:124], v[117:118], v[125:126], -v[123:124]
	v_mov_b32_e32 v119, v121
	v_mov_b32_e32 v117, v123
	v_mov_b32_e32 v120, v122
	v_mov_b32_e32 v118, v124
.LBB66_99:
	s_or_b64 exec, exec, s[6:7]
	v_mov_b32_dpp v125, v123 row_shr:4 row_mask:0xf bank_mask:0xf
	v_mov_b32_dpp v126, v124 row_shr:4 row_mask:0xf bank_mask:0xf
	v_mov_b32_dpp v127, v121 row_shr:4 row_mask:0xf bank_mask:0xf
	v_mov_b32_dpp v128, v122 row_shr:4 row_mask:0xf bank_mask:0xf
	v_cmp_lt_u32_e64 s[2:3], 3, v132
	s_and_saveexec_b64 s[6:7], s[2:3]
	s_cbranch_execz .LBB66_101
; %bb.100:
	v_mul_f64 v[121:122], v[117:118], v[127:128]
	v_mul_f64 v[123:124], v[119:120], v[127:128]
	v_fma_f64 v[121:122], v[119:120], v[125:126], v[121:122]
	v_fma_f64 v[123:124], v[117:118], v[125:126], -v[123:124]
	v_mov_b32_e32 v119, v121
	v_mov_b32_e32 v117, v123
	v_mov_b32_e32 v120, v122
	v_mov_b32_e32 v118, v124
.LBB66_101:
	s_or_b64 exec, exec, s[6:7]
	;; [unrolled: 18-line block ×3, first 2 shown]
	v_and_b32_e32 v132, 16, v131
	v_mov_b32_dpp v125, v123 row_bcast:15 row_mask:0xf bank_mask:0xf
	v_mov_b32_dpp v126, v124 row_bcast:15 row_mask:0xf bank_mask:0xf
	;; [unrolled: 1-line block ×4, first 2 shown]
	v_cmp_ne_u32_e64 s[2:3], 0, v132
	s_and_saveexec_b64 s[6:7], s[2:3]
	s_cbranch_execz .LBB66_105
; %bb.104:
	v_mul_f64 v[121:122], v[117:118], v[127:128]
	v_mul_f64 v[123:124], v[119:120], v[127:128]
	v_fma_f64 v[121:122], v[119:120], v[125:126], v[121:122]
	v_fma_f64 v[117:118], v[117:118], v[125:126], -v[123:124]
	v_mov_b32_e32 v119, v121
	v_mov_b32_e32 v120, v122
	v_mov_b32_e32 v124, v118
	v_mov_b32_e32 v123, v117
.LBB66_105:
	s_or_b64 exec, exec, s[6:7]
	s_nop 0
	v_mov_b32_dpp v123, v123 row_bcast:31 row_mask:0xf bank_mask:0xf
	v_mov_b32_dpp v124, v124 row_bcast:31 row_mask:0xf bank_mask:0xf
	;; [unrolled: 1-line block ×4, first 2 shown]
	v_cmp_lt_u32_e64 s[2:3], 31, v131
	s_and_saveexec_b64 s[6:7], s[2:3]
	s_cbranch_execz .LBB66_107
; %bb.106:
	v_mul_f64 v[125:126], v[117:118], v[121:122]
	v_mul_f64 v[121:122], v[119:120], v[121:122]
	v_fma_f64 v[119:120], v[119:120], v[123:124], v[125:126]
	v_fma_f64 v[117:118], v[117:118], v[123:124], -v[121:122]
.LBB66_107:
	s_or_b64 exec, exec, s[6:7]
	v_cmp_eq_u32_e64 s[2:3], 63, v0
	s_and_saveexec_b64 s[6:7], s[2:3]
; %bb.108:
	v_mov_b32_e32 v121, 0
	ds_write_b128 v121, v[117:120]
; %bb.109:
	s_or_b64 exec, exec, s[6:7]
	v_add_u32_e32 v121, -1, v131
	v_and_b32_e32 v122, 64, v131
	v_cmp_lt_i32_e64 s[2:3], v121, v122
	v_cndmask_b32_e64 v121, v121, v131, s[2:3]
	v_lshlrev_b32_e32 v121, 2, v121
	ds_bpermute_b32 v117, v121, v117
	ds_bpermute_b32 v118, v121, v118
	;; [unrolled: 1-line block ×4, first 2 shown]
	s_waitcnt lgkmcnt(0)
	; wave barrier
	s_and_saveexec_b64 s[2:3], s[0:1]
	s_cbranch_execz .LBB66_111
; %bb.110:
	v_mul_f64 v[61:62], v[3:4], v[119:120]
	v_mul_f64 v[63:64], v[1:2], v[119:120]
	v_fma_f64 v[1:2], v[1:2], v[117:118], -v[61:62]
	v_fma_f64 v[3:4], v[3:4], v[117:118], v[63:64]
	v_mul_f64 v[61:62], v[15:16], v[1:2]
	v_mul_f64 v[15:16], v[15:16], v[3:4]
	v_fma_f64 v[63:64], v[13:14], v[3:4], v[61:62]
	v_fma_f64 v[61:62], v[13:14], v[1:2], -v[15:16]
	v_mul_f64 v[13:14], v[11:12], v[63:64]
	v_mul_f64 v[11:12], v[11:12], v[61:62]
	v_fma_f64 v[65:66], v[9:10], v[61:62], -v[13:14]
	v_fma_f64 v[67:68], v[9:10], v[63:64], v[11:12]
	v_mul_f64 v[9:10], v[7:8], v[65:66]
	v_mul_f64 v[7:8], v[7:8], v[67:68]
	v_fma_f64 v[71:72], v[5:6], v[67:68], v[9:10]
	v_fma_f64 v[69:70], v[5:6], v[65:66], -v[7:8]
	;; [unrolled: 8-line block ×7, first 2 shown]
	v_mul_f64 v[5:6], v[23:24], v[111:112]
	v_mul_f64 v[7:8], v[23:24], v[109:110]
	v_fma_f64 v[113:114], v[21:22], v[109:110], -v[5:6]
	v_fma_f64 v[115:116], v[21:22], v[111:112], v[7:8]
.LBB66_111:
	s_or_b64 exec, exec, s[2:3]
	s_and_saveexec_b64 s[0:1], vcc
	s_cbranch_execz .LBB66_113
; %bb.112:
	v_mov_b32_e32 v9, 0
	ds_read_b128 v[5:8], v9
	v_mov_b32_e32 v10, 2
	s_waitcnt lgkmcnt(0)
	global_store_dwordx4 v9, v[5:8], s[14:15] offset:1024
	s_waitcnt vmcnt(0)
	buffer_wbinvl1_vol
	global_store_byte v9, v10, s[24:25] offset:64
.LBB66_113:
	s_or_b64 exec, exec, s[0:1]
	v_mov_b32_e32 v118, v2
	v_mov_b32_e32 v120, v4
	;; [unrolled: 1-line block ×4, first 2 shown]
.LBB66_114:
	s_add_u32 s0, s10, s22
	s_addc_u32 s1, s11, s23
	s_mov_b64 s[2:3], -1
	s_and_b64 vcc, exec, s[20:21]
	s_waitcnt lgkmcnt(0)
	; wave barrier
	s_cbranch_vccz .LBB66_116
; %bb.115:
	v_mov_b32_e32 v121, s1
	v_add_co_u32_e32 v122, vcc, s0, v129
	ds_write_b128 v130, v[117:120]
	ds_write_b128 v130, v[61:64] offset:16
	ds_write_b128 v130, v[65:68] offset:32
	;; [unrolled: 1-line block ×14, first 2 shown]
	s_waitcnt lgkmcnt(0)
	; wave barrier
	ds_read_b128 v[1:4], v129
	ds_read_b128 v[5:8], v129 offset:1024
	ds_read_b128 v[9:12], v129 offset:2048
	;; [unrolled: 1-line block ×14, first 2 shown]
	v_addc_co_u32_e32 v121, vcc, 0, v121, vcc
	s_movk_i32 s2, 0x1000
	s_waitcnt lgkmcnt(14)
	global_store_dwordx4 v129, v[1:4], s[0:1]
	s_waitcnt lgkmcnt(13)
	global_store_dwordx4 v129, v[5:8], s[0:1] offset:1024
	s_waitcnt lgkmcnt(12)
	global_store_dwordx4 v129, v[9:12], s[0:1] offset:2048
	;; [unrolled: 2-line block ×3, first 2 shown]
	v_add_co_u32_e32 v1, vcc, s2, v122
	v_addc_co_u32_e32 v2, vcc, 0, v121, vcc
	s_movk_i32 s2, 0x2000
	v_add_co_u32_e32 v3, vcc, s2, v122
	v_addc_co_u32_e32 v4, vcc, 0, v121, vcc
	s_waitcnt lgkmcnt(10)
	global_store_dwordx4 v[3:4], v[17:20], off offset:-4096
	s_waitcnt lgkmcnt(9)
	global_store_dwordx4 v[1:2], v[21:24], off offset:1024
	s_waitcnt lgkmcnt(8)
	global_store_dwordx4 v[1:2], v[25:28], off offset:2048
	;; [unrolled: 2-line block ×3, first 2 shown]
	s_waitcnt lgkmcnt(6)
	global_store_dwordx4 v[3:4], v[33:36], off
	s_waitcnt lgkmcnt(5)
	global_store_dwordx4 v[3:4], v[37:40], off offset:1024
	s_waitcnt lgkmcnt(4)
	global_store_dwordx4 v[3:4], v[41:44], off offset:2048
	;; [unrolled: 2-line block ×3, first 2 shown]
	v_add_co_u32_e32 v1, vcc, 0x3000, v122
	v_addc_co_u32_e32 v2, vcc, 0, v121, vcc
	s_waitcnt lgkmcnt(2)
	global_store_dwordx4 v[1:2], v[49:52], off
	s_waitcnt lgkmcnt(1)
	global_store_dwordx4 v[1:2], v[53:56], off offset:1024
	s_waitcnt lgkmcnt(0)
	global_store_dwordx4 v[1:2], v[57:60], off offset:2048
	s_mov_b64 s[2:3], 0
.LBB66_116:
	s_andn2_b64 vcc, exec, s[2:3]
	s_cbranch_vccnz .LBB66_202
; %bb.117:
	s_movk_i32 s2, 0xff20
	v_mad_i32_i24 v58, v0, s2, v130
	ds_write_b128 v130, v[117:120]
	ds_write_b128 v130, v[61:64] offset:16
	ds_write_b128 v130, v[65:68] offset:32
	;; [unrolled: 1-line block ×14, first 2 shown]
	s_waitcnt lgkmcnt(0)
	; wave barrier
	ds_read_b128 v[10:13], v58
	ds_read_b128 v[2:5], v58 offset:1024
	ds_read_b128 v[6:9], v58 offset:2048
	;; [unrolled: 1-line block ×14, first 2 shown]
	v_mov_b32_e32 v63, s1
	v_add_co_u32_e32 v62, vcc, s0, v129
	v_addc_co_u32_e32 v63, vcc, 0, v63, vcc
	v_mov_b32_e32 v1, 0
	v_cmp_gt_u32_e32 vcc, s26, v0
	s_and_saveexec_b64 s[0:1], vcc
	s_cbranch_execz .LBB66_119
; %bb.118:
	s_waitcnt lgkmcnt(14)
	global_store_dwordx4 v[62:63], v[10:13], off
.LBB66_119:
	s_or_b64 exec, exec, s[0:1]
	v_or_b32_e32 v64, 64, v0
	v_cmp_gt_u32_e32 vcc, s26, v64
	s_and_saveexec_b64 s[0:1], vcc
	s_cbranch_execz .LBB66_121
; %bb.120:
	s_waitcnt lgkmcnt(13)
	global_store_dwordx4 v[62:63], v[2:5], off offset:1024
.LBB66_121:
	s_or_b64 exec, exec, s[0:1]
	v_or_b32_e32 v64, 0x80, v0
	v_cmp_gt_u32_e32 vcc, s26, v64
	s_and_saveexec_b64 s[0:1], vcc
	s_cbranch_execz .LBB66_123
; %bb.122:
	s_waitcnt lgkmcnt(12)
	global_store_dwordx4 v[62:63], v[6:9], off offset:2048
.LBB66_123:
	;; [unrolled: 9-line block ×3, first 2 shown]
	s_or_b64 exec, exec, s[0:1]
	v_or_b32_e32 v64, 0x100, v0
	v_cmp_gt_u32_e32 vcc, s26, v64
	s_and_saveexec_b64 s[0:1], vcc
	s_cbranch_execz .LBB66_127
; %bb.126:
	v_add_co_u32_e32 v64, vcc, 0x1000, v62
	v_addc_co_u32_e32 v65, vcc, 0, v63, vcc
	s_waitcnt lgkmcnt(10)
	global_store_dwordx4 v[64:65], v[14:17], off
.LBB66_127:
	s_or_b64 exec, exec, s[0:1]
	v_or_b32_e32 v64, 0x140, v0
	v_cmp_gt_u32_e32 vcc, s26, v64
	s_and_saveexec_b64 s[0:1], vcc
	s_cbranch_execz .LBB66_129
; %bb.128:
	v_add_co_u32_e32 v64, vcc, 0x1000, v62
	v_addc_co_u32_e32 v65, vcc, 0, v63, vcc
	s_waitcnt lgkmcnt(9)
	global_store_dwordx4 v[64:65], v[22:25], off offset:1024
.LBB66_129:
	s_or_b64 exec, exec, s[0:1]
	v_or_b32_e32 v64, 0x180, v0
	v_cmp_gt_u32_e32 vcc, s26, v64
	s_and_saveexec_b64 s[0:1], vcc
	s_cbranch_execz .LBB66_131
; %bb.130:
	v_add_co_u32_e32 v64, vcc, 0x1000, v62
	v_addc_co_u32_e32 v65, vcc, 0, v63, vcc
	s_waitcnt lgkmcnt(8)
	global_store_dwordx4 v[64:65], v[26:29], off offset:2048
.LBB66_131:
	;; [unrolled: 11-line block ×3, first 2 shown]
	s_or_b64 exec, exec, s[0:1]
	v_or_b32_e32 v64, 0x200, v0
	v_cmp_gt_u32_e32 vcc, s26, v64
	s_and_saveexec_b64 s[0:1], vcc
	s_cbranch_execz .LBB66_135
; %bb.134:
	v_add_co_u32_e32 v64, vcc, 0x2000, v62
	v_addc_co_u32_e32 v65, vcc, 0, v63, vcc
	s_waitcnt lgkmcnt(6)
	global_store_dwordx4 v[64:65], v[42:45], off
.LBB66_135:
	s_or_b64 exec, exec, s[0:1]
	v_or_b32_e32 v64, 0x240, v0
	v_cmp_gt_u32_e32 vcc, s26, v64
	s_and_saveexec_b64 s[0:1], vcc
	s_cbranch_execz .LBB66_137
; %bb.136:
	v_add_co_u32_e32 v64, vcc, 0x2000, v62
	v_addc_co_u32_e32 v65, vcc, 0, v63, vcc
	s_waitcnt lgkmcnt(5)
	global_store_dwordx4 v[64:65], v[38:41], off offset:1024
.LBB66_137:
	s_or_b64 exec, exec, s[0:1]
	v_or_b32_e32 v64, 0x280, v0
	v_cmp_gt_u32_e32 vcc, s26, v64
	s_and_saveexec_b64 s[0:1], vcc
	s_cbranch_execz .LBB66_139
; %bb.138:
	v_add_co_u32_e32 v64, vcc, 0x2000, v62
	v_addc_co_u32_e32 v65, vcc, 0, v63, vcc
	s_waitcnt lgkmcnt(4)
	global_store_dwordx4 v[64:65], v[46:49], off offset:2048
.LBB66_139:
	;; [unrolled: 11-line block ×3, first 2 shown]
	s_or_b64 exec, exec, s[0:1]
	v_or_b32_e32 v64, 0x300, v0
	v_cmp_gt_u32_e32 vcc, s26, v64
	s_and_saveexec_b64 s[0:1], vcc
	s_cbranch_execz .LBB66_143
; %bb.142:
	v_add_co_u32_e32 v64, vcc, 0x3000, v62
	v_addc_co_u32_e32 v65, vcc, 0, v63, vcc
	s_waitcnt lgkmcnt(2)
	global_store_dwordx4 v[64:65], v[50:53], off
.LBB66_143:
	s_or_b64 exec, exec, s[0:1]
	v_or_b32_e32 v64, 0x340, v0
	v_cmp_gt_u32_e32 vcc, s26, v64
	s_and_saveexec_b64 s[0:1], vcc
	s_cbranch_execz .LBB66_145
; %bb.144:
	v_add_co_u32_e32 v64, vcc, 0x3000, v62
	v_addc_co_u32_e32 v65, vcc, 0, v63, vcc
	s_waitcnt lgkmcnt(1)
	global_store_dwordx4 v[64:65], v[54:57], off offset:1024
.LBB66_145:
	s_or_b64 exec, exec, s[0:1]
	v_or_b32_e32 v64, 0x380, v0
	v_cmp_gt_u32_e32 vcc, s26, v64
	s_and_saveexec_b64 s[0:1], vcc
	s_cbranch_execz .LBB66_147
; %bb.146:
	v_add_co_u32_e32 v62, vcc, 0x3000, v62
	v_addc_co_u32_e32 v63, vcc, 0, v63, vcc
	s_waitcnt lgkmcnt(0)
	global_store_dwordx4 v[62:63], v[58:61], off offset:2048
.LBB66_147:
	s_or_b64 exec, exec, s[0:1]
	s_load_dword s0, s[4:5], 0x68
	s_waitcnt lgkmcnt(0)
	s_bfe_u32 s0, s0, 0x10008
	s_cmp_eq_u32 s0, 0
	s_cbranch_scc1 .LBB66_202
; %bb.148:
	s_add_u32 s0, s26, -1
	s_addc_u32 s1, s27, -1
	s_mul_i32 s5, s1, 0x88888889
	s_mul_hi_u32 s6, s0, 0x88888889
	s_mul_hi_u32 s4, s1, 0x88888889
	s_add_u32 s5, s5, s6
	s_mul_i32 s3, s0, 0x88888888
	s_addc_u32 s4, s4, 0
	s_mul_hi_u32 s2, s0, 0x88888888
	s_add_u32 s3, s3, s5
	s_addc_u32 s2, s2, 0
	s_add_u32 s2, s4, s2
	s_addc_u32 s3, 0, 0
	s_mul_i32 s5, s1, 0x88888888
	s_mul_hi_u32 s4, s1, 0x88888888
	s_add_u32 s2, s5, s2
	s_addc_u32 s3, s4, s3
	s_lshr_b64 s[2:3], s[2:3], 3
	v_cmp_eq_u64_e32 vcc, s[2:3], v[0:1]
	s_and_saveexec_b64 s[2:3], vcc
	s_cbranch_execz .LBB66_202
; %bb.149:
	v_mul_hi_u32_u24_e32 v1, 15, v0
	v_mul_u32_u24_e32 v0, 15, v0
	v_mov_b32_e32 v62, s1
	v_sub_co_u32_e32 v0, vcc, s0, v0
	v_subb_co_u32_e32 v1, vcc, v62, v1, vcc
	v_cmp_lt_i64_e32 vcc, 7, v[0:1]
	s_and_saveexec_b64 s[0:1], vcc
	s_xor_b64 s[0:1], exec, s[0:1]
	s_cbranch_execz .LBB66_175
; %bb.150:
	v_cmp_lt_i64_e32 vcc, 10, v[0:1]
	s_and_saveexec_b64 s[2:3], vcc
	s_xor_b64 s[2:3], exec, s[2:3]
	s_cbranch_execz .LBB66_164
; %bb.151:
	v_cmp_lt_i64_e32 vcc, 12, v[0:1]
	s_and_saveexec_b64 s[4:5], vcc
	s_xor_b64 s[4:5], exec, s[4:5]
	s_cbranch_execz .LBB66_157
; %bb.152:
	v_cmp_lt_i64_e32 vcc, 13, v[0:1]
	s_and_saveexec_b64 s[6:7], vcc
	s_xor_b64 s[6:7], exec, s[6:7]
	s_cbranch_execz .LBB66_154
; %bb.153:
	v_mov_b32_e32 v0, 0
	global_store_dwordx4 v0, v[58:61], s[18:19]
                                        ; implicit-def: $vgpr54_vgpr55_vgpr56_vgpr57
.LBB66_154:
	s_andn2_saveexec_b64 s[6:7], s[6:7]
	s_cbranch_execz .LBB66_156
; %bb.155:
	v_mov_b32_e32 v0, 0
	global_store_dwordx4 v0, v[54:57], s[18:19]
.LBB66_156:
	s_or_b64 exec, exec, s[6:7]
                                        ; implicit-def: $vgpr34_vgpr35_vgpr36_vgpr37
                                        ; implicit-def: $vgpr0_vgpr1
                                        ; implicit-def: $vgpr50_vgpr51_vgpr52_vgpr53
.LBB66_157:
	s_andn2_saveexec_b64 s[4:5], s[4:5]
	s_cbranch_execz .LBB66_163
; %bb.158:
	v_cmp_lt_i64_e32 vcc, 11, v[0:1]
	s_and_saveexec_b64 s[6:7], vcc
	s_xor_b64 s[6:7], exec, s[6:7]
	s_cbranch_execz .LBB66_160
; %bb.159:
	v_mov_b32_e32 v0, 0
	global_store_dwordx4 v0, v[50:53], s[18:19]
                                        ; implicit-def: $vgpr34_vgpr35_vgpr36_vgpr37
.LBB66_160:
	s_andn2_saveexec_b64 s[6:7], s[6:7]
	s_cbranch_execz .LBB66_162
; %bb.161:
	v_mov_b32_e32 v0, 0
	global_store_dwordx4 v0, v[34:37], s[18:19]
.LBB66_162:
	s_or_b64 exec, exec, s[6:7]
.LBB66_163:
	s_or_b64 exec, exec, s[4:5]
                                        ; implicit-def: $vgpr42_vgpr43_vgpr44_vgpr45
                                        ; implicit-def: $vgpr0_vgpr1
                                        ; implicit-def: $vgpr38_vgpr39_vgpr40_vgpr41
                                        ; implicit-def: $vgpr46_vgpr47_vgpr48_vgpr49
.LBB66_164:
	s_andn2_saveexec_b64 s[2:3], s[2:3]
	s_cbranch_execz .LBB66_174
; %bb.165:
	v_cmp_lt_i64_e32 vcc, 8, v[0:1]
	s_and_saveexec_b64 s[4:5], vcc
	s_xor_b64 s[4:5], exec, s[4:5]
	s_cbranch_execz .LBB66_171
; %bb.166:
	v_cmp_lt_i64_e32 vcc, 9, v[0:1]
	s_and_saveexec_b64 s[6:7], vcc
	s_xor_b64 s[6:7], exec, s[6:7]
	s_cbranch_execz .LBB66_168
; %bb.167:
	v_mov_b32_e32 v0, 0
	global_store_dwordx4 v0, v[46:49], s[18:19]
                                        ; implicit-def: $vgpr38_vgpr39_vgpr40_vgpr41
.LBB66_168:
	s_andn2_saveexec_b64 s[6:7], s[6:7]
	s_cbranch_execz .LBB66_170
; %bb.169:
	v_mov_b32_e32 v0, 0
	global_store_dwordx4 v0, v[38:41], s[18:19]
.LBB66_170:
	s_or_b64 exec, exec, s[6:7]
                                        ; implicit-def: $vgpr42_vgpr43_vgpr44_vgpr45
.LBB66_171:
	s_andn2_saveexec_b64 s[4:5], s[4:5]
	s_cbranch_execz .LBB66_173
; %bb.172:
	v_mov_b32_e32 v0, 0
	global_store_dwordx4 v0, v[42:45], s[18:19]
.LBB66_173:
	s_or_b64 exec, exec, s[4:5]
.LBB66_174:
	s_or_b64 exec, exec, s[2:3]
                                        ; implicit-def: $vgpr2_vgpr3_vgpr4_vgpr5
                                        ; implicit-def: $vgpr6_vgpr7_vgpr8_vgpr9
                                        ; implicit-def: $vgpr18_vgpr19_vgpr20_vgpr21
                                        ; implicit-def: $vgpr14_vgpr15_vgpr16_vgpr17
                                        ; implicit-def: $vgpr22_vgpr23_vgpr24_vgpr25
                                        ; implicit-def: $vgpr26_vgpr27_vgpr28_vgpr29
                                        ; implicit-def: $vgpr30_vgpr31_vgpr32_vgpr33
                                        ; implicit-def: $vgpr0_vgpr1
                                        ; implicit-def: $vgpr10_vgpr11_vgpr12_vgpr13
.LBB66_175:
	s_andn2_saveexec_b64 s[0:1], s[0:1]
	s_cbranch_execz .LBB66_202
; %bb.176:
	v_cmp_lt_i64_e32 vcc, 3, v[0:1]
	s_and_saveexec_b64 s[0:1], vcc
	s_xor_b64 s[0:1], exec, s[0:1]
	s_cbranch_execz .LBB66_190
; %bb.177:
	v_cmp_lt_i64_e32 vcc, 5, v[0:1]
	s_and_saveexec_b64 s[2:3], vcc
	s_xor_b64 s[2:3], exec, s[2:3]
	;; [unrolled: 5-line block ×3, first 2 shown]
	s_cbranch_execz .LBB66_180
; %bb.179:
	v_mov_b32_e32 v0, 0
	global_store_dwordx4 v0, v[30:33], s[18:19]
                                        ; implicit-def: $vgpr26_vgpr27_vgpr28_vgpr29
.LBB66_180:
	s_andn2_saveexec_b64 s[4:5], s[4:5]
	s_cbranch_execz .LBB66_182
; %bb.181:
	v_mov_b32_e32 v0, 0
	global_store_dwordx4 v0, v[26:29], s[18:19]
.LBB66_182:
	s_or_b64 exec, exec, s[4:5]
                                        ; implicit-def: $vgpr14_vgpr15_vgpr16_vgpr17
                                        ; implicit-def: $vgpr0_vgpr1
                                        ; implicit-def: $vgpr22_vgpr23_vgpr24_vgpr25
.LBB66_183:
	s_andn2_saveexec_b64 s[2:3], s[2:3]
	s_cbranch_execz .LBB66_189
; %bb.184:
	v_cmp_lt_i64_e32 vcc, 4, v[0:1]
	s_and_saveexec_b64 s[4:5], vcc
	s_xor_b64 s[4:5], exec, s[4:5]
	s_cbranch_execz .LBB66_186
; %bb.185:
	v_mov_b32_e32 v0, 0
	global_store_dwordx4 v0, v[22:25], s[18:19]
                                        ; implicit-def: $vgpr14_vgpr15_vgpr16_vgpr17
.LBB66_186:
	s_andn2_saveexec_b64 s[4:5], s[4:5]
	s_cbranch_execz .LBB66_188
; %bb.187:
	v_mov_b32_e32 v0, 0
	global_store_dwordx4 v0, v[14:17], s[18:19]
.LBB66_188:
	s_or_b64 exec, exec, s[4:5]
.LBB66_189:
	s_or_b64 exec, exec, s[2:3]
                                        ; implicit-def: $vgpr0_vgpr1
                                        ; implicit-def: $vgpr2_vgpr3_vgpr4_vgpr5
                                        ; implicit-def: $vgpr6_vgpr7_vgpr8_vgpr9
                                        ; implicit-def: $vgpr10_vgpr11_vgpr12_vgpr13
                                        ; implicit-def: $vgpr18_vgpr19_vgpr20_vgpr21
.LBB66_190:
	s_andn2_saveexec_b64 s[0:1], s[0:1]
	s_cbranch_execz .LBB66_202
; %bb.191:
	v_cmp_lt_i64_e32 vcc, 1, v[0:1]
	s_and_saveexec_b64 s[0:1], vcc
	s_xor_b64 s[0:1], exec, s[0:1]
	s_cbranch_execz .LBB66_197
; %bb.192:
	v_cmp_lt_i64_e32 vcc, 2, v[0:1]
	s_and_saveexec_b64 s[2:3], vcc
	s_xor_b64 s[2:3], exec, s[2:3]
	s_cbranch_execz .LBB66_194
; %bb.193:
	v_mov_b32_e32 v0, 0
	global_store_dwordx4 v0, v[18:21], s[18:19]
                                        ; implicit-def: $vgpr6_vgpr7_vgpr8_vgpr9
.LBB66_194:
	s_andn2_saveexec_b64 s[2:3], s[2:3]
	s_cbranch_execz .LBB66_196
; %bb.195:
	v_mov_b32_e32 v0, 0
	global_store_dwordx4 v0, v[6:9], s[18:19]
.LBB66_196:
	s_or_b64 exec, exec, s[2:3]
                                        ; implicit-def: $vgpr2_vgpr3_vgpr4_vgpr5
                                        ; implicit-def: $vgpr0_vgpr1
                                        ; implicit-def: $vgpr10_vgpr11_vgpr12_vgpr13
.LBB66_197:
	s_andn2_saveexec_b64 s[0:1], s[0:1]
	s_cbranch_execz .LBB66_202
; %bb.198:
	v_cmp_ne_u64_e32 vcc, 1, v[0:1]
	s_and_saveexec_b64 s[0:1], vcc
	s_xor_b64 s[0:1], exec, s[0:1]
	s_cbranch_execz .LBB66_200
; %bb.199:
	v_mov_b32_e32 v0, 0
	global_store_dwordx4 v0, v[10:13], s[18:19]
                                        ; implicit-def: $vgpr2_vgpr3_vgpr4_vgpr5
.LBB66_200:
	s_andn2_saveexec_b64 s[0:1], s[0:1]
	s_cbranch_execz .LBB66_202
; %bb.201:
	v_mov_b32_e32 v0, 0
	global_store_dwordx4 v0, v[2:5], s[18:19]
.LBB66_202:
	s_endpgm
	.section	.rodata,"a",@progbits
	.p2align	6, 0x0
	.amdhsa_kernel _ZN7rocprim17ROCPRIM_304000_NS6detail20lookback_scan_kernelILNS1_25lookback_scan_determinismE0ELb0ENS1_19wrapped_scan_configINS0_14default_configEN3c107complexIdEEEEPKS8_PS8_St10multipliesIS8_ES8_S8_NS1_19lookback_scan_stateIS8_Lb0ELb0EEEEEvT2_T3_mT5_T4_T7_jPT6_SN_bb
		.amdhsa_group_segment_fixed_size 15360
		.amdhsa_private_segment_fixed_size 0
		.amdhsa_kernarg_size 108
		.amdhsa_user_sgpr_count 6
		.amdhsa_user_sgpr_private_segment_buffer 1
		.amdhsa_user_sgpr_dispatch_ptr 0
		.amdhsa_user_sgpr_queue_ptr 0
		.amdhsa_user_sgpr_kernarg_segment_ptr 1
		.amdhsa_user_sgpr_dispatch_id 0
		.amdhsa_user_sgpr_flat_scratch_init 0
		.amdhsa_user_sgpr_private_segment_size 0
		.amdhsa_uses_dynamic_stack 0
		.amdhsa_system_sgpr_private_segment_wavefront_offset 0
		.amdhsa_system_sgpr_workgroup_id_x 1
		.amdhsa_system_sgpr_workgroup_id_y 0
		.amdhsa_system_sgpr_workgroup_id_z 0
		.amdhsa_system_sgpr_workgroup_info 0
		.amdhsa_system_vgpr_workitem_id 0
		.amdhsa_next_free_vgpr 133
		.amdhsa_next_free_sgpr 98
		.amdhsa_reserve_vcc 1
		.amdhsa_reserve_flat_scratch 0
		.amdhsa_float_round_mode_32 0
		.amdhsa_float_round_mode_16_64 0
		.amdhsa_float_denorm_mode_32 3
		.amdhsa_float_denorm_mode_16_64 3
		.amdhsa_dx10_clamp 1
		.amdhsa_ieee_mode 1
		.amdhsa_fp16_overflow 0
		.amdhsa_exception_fp_ieee_invalid_op 0
		.amdhsa_exception_fp_denorm_src 0
		.amdhsa_exception_fp_ieee_div_zero 0
		.amdhsa_exception_fp_ieee_overflow 0
		.amdhsa_exception_fp_ieee_underflow 0
		.amdhsa_exception_fp_ieee_inexact 0
		.amdhsa_exception_int_div_zero 0
	.end_amdhsa_kernel
	.section	.text._ZN7rocprim17ROCPRIM_304000_NS6detail20lookback_scan_kernelILNS1_25lookback_scan_determinismE0ELb0ENS1_19wrapped_scan_configINS0_14default_configEN3c107complexIdEEEEPKS8_PS8_St10multipliesIS8_ES8_S8_NS1_19lookback_scan_stateIS8_Lb0ELb0EEEEEvT2_T3_mT5_T4_T7_jPT6_SN_bb,"axG",@progbits,_ZN7rocprim17ROCPRIM_304000_NS6detail20lookback_scan_kernelILNS1_25lookback_scan_determinismE0ELb0ENS1_19wrapped_scan_configINS0_14default_configEN3c107complexIdEEEEPKS8_PS8_St10multipliesIS8_ES8_S8_NS1_19lookback_scan_stateIS8_Lb0ELb0EEEEEvT2_T3_mT5_T4_T7_jPT6_SN_bb,comdat
.Lfunc_end66:
	.size	_ZN7rocprim17ROCPRIM_304000_NS6detail20lookback_scan_kernelILNS1_25lookback_scan_determinismE0ELb0ENS1_19wrapped_scan_configINS0_14default_configEN3c107complexIdEEEEPKS8_PS8_St10multipliesIS8_ES8_S8_NS1_19lookback_scan_stateIS8_Lb0ELb0EEEEEvT2_T3_mT5_T4_T7_jPT6_SN_bb, .Lfunc_end66-_ZN7rocprim17ROCPRIM_304000_NS6detail20lookback_scan_kernelILNS1_25lookback_scan_determinismE0ELb0ENS1_19wrapped_scan_configINS0_14default_configEN3c107complexIdEEEEPKS8_PS8_St10multipliesIS8_ES8_S8_NS1_19lookback_scan_stateIS8_Lb0ELb0EEEEEvT2_T3_mT5_T4_T7_jPT6_SN_bb
                                        ; -- End function
	.set _ZN7rocprim17ROCPRIM_304000_NS6detail20lookback_scan_kernelILNS1_25lookback_scan_determinismE0ELb0ENS1_19wrapped_scan_configINS0_14default_configEN3c107complexIdEEEEPKS8_PS8_St10multipliesIS8_ES8_S8_NS1_19lookback_scan_stateIS8_Lb0ELb0EEEEEvT2_T3_mT5_T4_T7_jPT6_SN_bb.num_vgpr, 133
	.set _ZN7rocprim17ROCPRIM_304000_NS6detail20lookback_scan_kernelILNS1_25lookback_scan_determinismE0ELb0ENS1_19wrapped_scan_configINS0_14default_configEN3c107complexIdEEEEPKS8_PS8_St10multipliesIS8_ES8_S8_NS1_19lookback_scan_stateIS8_Lb0ELb0EEEEEvT2_T3_mT5_T4_T7_jPT6_SN_bb.num_agpr, 0
	.set _ZN7rocprim17ROCPRIM_304000_NS6detail20lookback_scan_kernelILNS1_25lookback_scan_determinismE0ELb0ENS1_19wrapped_scan_configINS0_14default_configEN3c107complexIdEEEEPKS8_PS8_St10multipliesIS8_ES8_S8_NS1_19lookback_scan_stateIS8_Lb0ELb0EEEEEvT2_T3_mT5_T4_T7_jPT6_SN_bb.numbered_sgpr, 28
	.set _ZN7rocprim17ROCPRIM_304000_NS6detail20lookback_scan_kernelILNS1_25lookback_scan_determinismE0ELb0ENS1_19wrapped_scan_configINS0_14default_configEN3c107complexIdEEEEPKS8_PS8_St10multipliesIS8_ES8_S8_NS1_19lookback_scan_stateIS8_Lb0ELb0EEEEEvT2_T3_mT5_T4_T7_jPT6_SN_bb.num_named_barrier, 0
	.set _ZN7rocprim17ROCPRIM_304000_NS6detail20lookback_scan_kernelILNS1_25lookback_scan_determinismE0ELb0ENS1_19wrapped_scan_configINS0_14default_configEN3c107complexIdEEEEPKS8_PS8_St10multipliesIS8_ES8_S8_NS1_19lookback_scan_stateIS8_Lb0ELb0EEEEEvT2_T3_mT5_T4_T7_jPT6_SN_bb.private_seg_size, 0
	.set _ZN7rocprim17ROCPRIM_304000_NS6detail20lookback_scan_kernelILNS1_25lookback_scan_determinismE0ELb0ENS1_19wrapped_scan_configINS0_14default_configEN3c107complexIdEEEEPKS8_PS8_St10multipliesIS8_ES8_S8_NS1_19lookback_scan_stateIS8_Lb0ELb0EEEEEvT2_T3_mT5_T4_T7_jPT6_SN_bb.uses_vcc, 1
	.set _ZN7rocprim17ROCPRIM_304000_NS6detail20lookback_scan_kernelILNS1_25lookback_scan_determinismE0ELb0ENS1_19wrapped_scan_configINS0_14default_configEN3c107complexIdEEEEPKS8_PS8_St10multipliesIS8_ES8_S8_NS1_19lookback_scan_stateIS8_Lb0ELb0EEEEEvT2_T3_mT5_T4_T7_jPT6_SN_bb.uses_flat_scratch, 0
	.set _ZN7rocprim17ROCPRIM_304000_NS6detail20lookback_scan_kernelILNS1_25lookback_scan_determinismE0ELb0ENS1_19wrapped_scan_configINS0_14default_configEN3c107complexIdEEEEPKS8_PS8_St10multipliesIS8_ES8_S8_NS1_19lookback_scan_stateIS8_Lb0ELb0EEEEEvT2_T3_mT5_T4_T7_jPT6_SN_bb.has_dyn_sized_stack, 0
	.set _ZN7rocprim17ROCPRIM_304000_NS6detail20lookback_scan_kernelILNS1_25lookback_scan_determinismE0ELb0ENS1_19wrapped_scan_configINS0_14default_configEN3c107complexIdEEEEPKS8_PS8_St10multipliesIS8_ES8_S8_NS1_19lookback_scan_stateIS8_Lb0ELb0EEEEEvT2_T3_mT5_T4_T7_jPT6_SN_bb.has_recursion, 0
	.set _ZN7rocprim17ROCPRIM_304000_NS6detail20lookback_scan_kernelILNS1_25lookback_scan_determinismE0ELb0ENS1_19wrapped_scan_configINS0_14default_configEN3c107complexIdEEEEPKS8_PS8_St10multipliesIS8_ES8_S8_NS1_19lookback_scan_stateIS8_Lb0ELb0EEEEEvT2_T3_mT5_T4_T7_jPT6_SN_bb.has_indirect_call, 0
	.section	.AMDGPU.csdata,"",@progbits
; Kernel info:
; codeLenInByte = 9380
; TotalNumSgprs: 32
; NumVgprs: 133
; ScratchSize: 0
; MemoryBound: 1
; FloatMode: 240
; IeeeMode: 1
; LDSByteSize: 15360 bytes/workgroup (compile time only)
; SGPRBlocks: 12
; VGPRBlocks: 33
; NumSGPRsForWavesPerEU: 102
; NumVGPRsForWavesPerEU: 133
; Occupancy: 1
; WaveLimiterHint : 1
; COMPUTE_PGM_RSRC2:SCRATCH_EN: 0
; COMPUTE_PGM_RSRC2:USER_SGPR: 6
; COMPUTE_PGM_RSRC2:TRAP_HANDLER: 0
; COMPUTE_PGM_RSRC2:TGID_X_EN: 1
; COMPUTE_PGM_RSRC2:TGID_Y_EN: 0
; COMPUTE_PGM_RSRC2:TGID_Z_EN: 0
; COMPUTE_PGM_RSRC2:TIDIG_COMP_CNT: 0
	.section	.text._ZN7rocprim17ROCPRIM_304000_NS6detail16transform_kernelINS1_24wrapped_transform_configINS0_14default_configEN3c107complexIdEEEES7_PS7_S9_NS0_8identityIS7_EEEEvT1_mT2_T3_,"axG",@progbits,_ZN7rocprim17ROCPRIM_304000_NS6detail16transform_kernelINS1_24wrapped_transform_configINS0_14default_configEN3c107complexIdEEEES7_PS7_S9_NS0_8identityIS7_EEEEvT1_mT2_T3_,comdat
	.protected	_ZN7rocprim17ROCPRIM_304000_NS6detail16transform_kernelINS1_24wrapped_transform_configINS0_14default_configEN3c107complexIdEEEES7_PS7_S9_NS0_8identityIS7_EEEEvT1_mT2_T3_ ; -- Begin function _ZN7rocprim17ROCPRIM_304000_NS6detail16transform_kernelINS1_24wrapped_transform_configINS0_14default_configEN3c107complexIdEEEES7_PS7_S9_NS0_8identityIS7_EEEEvT1_mT2_T3_
	.globl	_ZN7rocprim17ROCPRIM_304000_NS6detail16transform_kernelINS1_24wrapped_transform_configINS0_14default_configEN3c107complexIdEEEES7_PS7_S9_NS0_8identityIS7_EEEEvT1_mT2_T3_
	.p2align	8
	.type	_ZN7rocprim17ROCPRIM_304000_NS6detail16transform_kernelINS1_24wrapped_transform_configINS0_14default_configEN3c107complexIdEEEES7_PS7_S9_NS0_8identityIS7_EEEEvT1_mT2_T3_,@function
_ZN7rocprim17ROCPRIM_304000_NS6detail16transform_kernelINS1_24wrapped_transform_configINS0_14default_configEN3c107complexIdEEEES7_PS7_S9_NS0_8identityIS7_EEEEvT1_mT2_T3_: ; @_ZN7rocprim17ROCPRIM_304000_NS6detail16transform_kernelINS1_24wrapped_transform_configINS0_14default_configEN3c107complexIdEEEES7_PS7_S9_NS0_8identityIS7_EEEEvT1_mT2_T3_
; %bb.0:
	s_load_dword s7, s[4:5], 0x20
	s_load_dwordx4 s[0:3], s[4:5], 0x0
	s_lshl_b32 s8, s6, 10
	s_waitcnt lgkmcnt(0)
	s_add_i32 s7, s7, -1
	s_cmp_lg_u32 s6, s7
	s_cselect_b64 s[6:7], -1, 0
	s_sub_i32 s2, s2, s8
	v_cmp_gt_u32_e32 vcc, s2, v0
	s_or_b64 s[2:3], vcc, s[6:7]
	s_and_saveexec_b64 s[6:7], s[2:3]
	s_cbranch_execz .LBB67_2
; %bb.1:
	s_load_dwordx2 s[2:3], s[4:5], 0x10
	s_mov_b32 s9, 0
	s_lshl_b64 s[4:5], s[8:9], 4
	v_lshlrev_b32_e32 v4, 4, v0
	s_waitcnt lgkmcnt(0)
	s_add_u32 s2, s2, s4
	s_addc_u32 s3, s3, s5
	s_add_u32 s0, s0, s4
	s_addc_u32 s1, s1, s5
	global_load_dwordx4 v[0:3], v4, s[0:1]
	s_waitcnt vmcnt(0)
	global_store_dwordx4 v4, v[0:3], s[2:3]
.LBB67_2:
	s_endpgm
	.section	.rodata,"a",@progbits
	.p2align	6, 0x0
	.amdhsa_kernel _ZN7rocprim17ROCPRIM_304000_NS6detail16transform_kernelINS1_24wrapped_transform_configINS0_14default_configEN3c107complexIdEEEES7_PS7_S9_NS0_8identityIS7_EEEEvT1_mT2_T3_
		.amdhsa_group_segment_fixed_size 0
		.amdhsa_private_segment_fixed_size 0
		.amdhsa_kernarg_size 288
		.amdhsa_user_sgpr_count 6
		.amdhsa_user_sgpr_private_segment_buffer 1
		.amdhsa_user_sgpr_dispatch_ptr 0
		.amdhsa_user_sgpr_queue_ptr 0
		.amdhsa_user_sgpr_kernarg_segment_ptr 1
		.amdhsa_user_sgpr_dispatch_id 0
		.amdhsa_user_sgpr_flat_scratch_init 0
		.amdhsa_user_sgpr_private_segment_size 0
		.amdhsa_uses_dynamic_stack 0
		.amdhsa_system_sgpr_private_segment_wavefront_offset 0
		.amdhsa_system_sgpr_workgroup_id_x 1
		.amdhsa_system_sgpr_workgroup_id_y 0
		.amdhsa_system_sgpr_workgroup_id_z 0
		.amdhsa_system_sgpr_workgroup_info 0
		.amdhsa_system_vgpr_workitem_id 0
		.amdhsa_next_free_vgpr 5
		.amdhsa_next_free_sgpr 10
		.amdhsa_reserve_vcc 1
		.amdhsa_reserve_flat_scratch 0
		.amdhsa_float_round_mode_32 0
		.amdhsa_float_round_mode_16_64 0
		.amdhsa_float_denorm_mode_32 3
		.amdhsa_float_denorm_mode_16_64 3
		.amdhsa_dx10_clamp 1
		.amdhsa_ieee_mode 1
		.amdhsa_fp16_overflow 0
		.amdhsa_exception_fp_ieee_invalid_op 0
		.amdhsa_exception_fp_denorm_src 0
		.amdhsa_exception_fp_ieee_div_zero 0
		.amdhsa_exception_fp_ieee_overflow 0
		.amdhsa_exception_fp_ieee_underflow 0
		.amdhsa_exception_fp_ieee_inexact 0
		.amdhsa_exception_int_div_zero 0
	.end_amdhsa_kernel
	.section	.text._ZN7rocprim17ROCPRIM_304000_NS6detail16transform_kernelINS1_24wrapped_transform_configINS0_14default_configEN3c107complexIdEEEES7_PS7_S9_NS0_8identityIS7_EEEEvT1_mT2_T3_,"axG",@progbits,_ZN7rocprim17ROCPRIM_304000_NS6detail16transform_kernelINS1_24wrapped_transform_configINS0_14default_configEN3c107complexIdEEEES7_PS7_S9_NS0_8identityIS7_EEEEvT1_mT2_T3_,comdat
.Lfunc_end67:
	.size	_ZN7rocprim17ROCPRIM_304000_NS6detail16transform_kernelINS1_24wrapped_transform_configINS0_14default_configEN3c107complexIdEEEES7_PS7_S9_NS0_8identityIS7_EEEEvT1_mT2_T3_, .Lfunc_end67-_ZN7rocprim17ROCPRIM_304000_NS6detail16transform_kernelINS1_24wrapped_transform_configINS0_14default_configEN3c107complexIdEEEES7_PS7_S9_NS0_8identityIS7_EEEEvT1_mT2_T3_
                                        ; -- End function
	.set _ZN7rocprim17ROCPRIM_304000_NS6detail16transform_kernelINS1_24wrapped_transform_configINS0_14default_configEN3c107complexIdEEEES7_PS7_S9_NS0_8identityIS7_EEEEvT1_mT2_T3_.num_vgpr, 5
	.set _ZN7rocprim17ROCPRIM_304000_NS6detail16transform_kernelINS1_24wrapped_transform_configINS0_14default_configEN3c107complexIdEEEES7_PS7_S9_NS0_8identityIS7_EEEEvT1_mT2_T3_.num_agpr, 0
	.set _ZN7rocprim17ROCPRIM_304000_NS6detail16transform_kernelINS1_24wrapped_transform_configINS0_14default_configEN3c107complexIdEEEES7_PS7_S9_NS0_8identityIS7_EEEEvT1_mT2_T3_.numbered_sgpr, 10
	.set _ZN7rocprim17ROCPRIM_304000_NS6detail16transform_kernelINS1_24wrapped_transform_configINS0_14default_configEN3c107complexIdEEEES7_PS7_S9_NS0_8identityIS7_EEEEvT1_mT2_T3_.num_named_barrier, 0
	.set _ZN7rocprim17ROCPRIM_304000_NS6detail16transform_kernelINS1_24wrapped_transform_configINS0_14default_configEN3c107complexIdEEEES7_PS7_S9_NS0_8identityIS7_EEEEvT1_mT2_T3_.private_seg_size, 0
	.set _ZN7rocprim17ROCPRIM_304000_NS6detail16transform_kernelINS1_24wrapped_transform_configINS0_14default_configEN3c107complexIdEEEES7_PS7_S9_NS0_8identityIS7_EEEEvT1_mT2_T3_.uses_vcc, 1
	.set _ZN7rocprim17ROCPRIM_304000_NS6detail16transform_kernelINS1_24wrapped_transform_configINS0_14default_configEN3c107complexIdEEEES7_PS7_S9_NS0_8identityIS7_EEEEvT1_mT2_T3_.uses_flat_scratch, 0
	.set _ZN7rocprim17ROCPRIM_304000_NS6detail16transform_kernelINS1_24wrapped_transform_configINS0_14default_configEN3c107complexIdEEEES7_PS7_S9_NS0_8identityIS7_EEEEvT1_mT2_T3_.has_dyn_sized_stack, 0
	.set _ZN7rocprim17ROCPRIM_304000_NS6detail16transform_kernelINS1_24wrapped_transform_configINS0_14default_configEN3c107complexIdEEEES7_PS7_S9_NS0_8identityIS7_EEEEvT1_mT2_T3_.has_recursion, 0
	.set _ZN7rocprim17ROCPRIM_304000_NS6detail16transform_kernelINS1_24wrapped_transform_configINS0_14default_configEN3c107complexIdEEEES7_PS7_S9_NS0_8identityIS7_EEEEvT1_mT2_T3_.has_indirect_call, 0
	.section	.AMDGPU.csdata,"",@progbits
; Kernel info:
; codeLenInByte = 120
; TotalNumSgprs: 14
; NumVgprs: 5
; ScratchSize: 0
; MemoryBound: 0
; FloatMode: 240
; IeeeMode: 1
; LDSByteSize: 0 bytes/workgroup (compile time only)
; SGPRBlocks: 1
; VGPRBlocks: 1
; NumSGPRsForWavesPerEU: 14
; NumVGPRsForWavesPerEU: 5
; Occupancy: 10
; WaveLimiterHint : 0
; COMPUTE_PGM_RSRC2:SCRATCH_EN: 0
; COMPUTE_PGM_RSRC2:USER_SGPR: 6
; COMPUTE_PGM_RSRC2:TRAP_HANDLER: 0
; COMPUTE_PGM_RSRC2:TGID_X_EN: 1
; COMPUTE_PGM_RSRC2:TGID_Y_EN: 0
; COMPUTE_PGM_RSRC2:TGID_Z_EN: 0
; COMPUTE_PGM_RSRC2:TIDIG_COMP_CNT: 0
	.section	.text._ZN7rocprim17ROCPRIM_304000_NS6detail18single_scan_kernelILb0ENS1_19wrapped_scan_configINS0_14default_configEN3c107complexIdEEEEPKS7_PS7_St10multipliesIS7_ES7_S7_EEvT1_mT4_T2_T3_,"axG",@progbits,_ZN7rocprim17ROCPRIM_304000_NS6detail18single_scan_kernelILb0ENS1_19wrapped_scan_configINS0_14default_configEN3c107complexIdEEEEPKS7_PS7_St10multipliesIS7_ES7_S7_EEvT1_mT4_T2_T3_,comdat
	.protected	_ZN7rocprim17ROCPRIM_304000_NS6detail18single_scan_kernelILb0ENS1_19wrapped_scan_configINS0_14default_configEN3c107complexIdEEEEPKS7_PS7_St10multipliesIS7_ES7_S7_EEvT1_mT4_T2_T3_ ; -- Begin function _ZN7rocprim17ROCPRIM_304000_NS6detail18single_scan_kernelILb0ENS1_19wrapped_scan_configINS0_14default_configEN3c107complexIdEEEEPKS7_PS7_St10multipliesIS7_ES7_S7_EEvT1_mT4_T2_T3_
	.globl	_ZN7rocprim17ROCPRIM_304000_NS6detail18single_scan_kernelILb0ENS1_19wrapped_scan_configINS0_14default_configEN3c107complexIdEEEEPKS7_PS7_St10multipliesIS7_ES7_S7_EEvT1_mT4_T2_T3_
	.p2align	8
	.type	_ZN7rocprim17ROCPRIM_304000_NS6detail18single_scan_kernelILb0ENS1_19wrapped_scan_configINS0_14default_configEN3c107complexIdEEEEPKS7_PS7_St10multipliesIS7_ES7_S7_EEvT1_mT4_T2_T3_,@function
_ZN7rocprim17ROCPRIM_304000_NS6detail18single_scan_kernelILb0ENS1_19wrapped_scan_configINS0_14default_configEN3c107complexIdEEEEPKS7_PS7_St10multipliesIS7_ES7_S7_EEvT1_mT4_T2_T3_: ; @_ZN7rocprim17ROCPRIM_304000_NS6detail18single_scan_kernelILb0ENS1_19wrapped_scan_configINS0_14default_configEN3c107complexIdEEEEPKS7_PS7_St10multipliesIS7_ES7_S7_EEvT1_mT4_T2_T3_
; %bb.0:
	s_load_dwordx4 s[28:31], s[4:5], 0x0
	v_lshlrev_b32_e32 v129, 4, v0
	s_waitcnt lgkmcnt(0)
	s_load_dwordx4 s[36:39], s[28:29], 0x0
	v_mov_b32_e32 v1, s29
	v_add_co_u32_e32 v61, vcc, s28, v129
	v_addc_co_u32_e32 v62, vcc, 0, v1, vcc
	s_waitcnt lgkmcnt(0)
	v_mov_b32_e32 v3, s38
	v_mov_b32_e32 v1, s36
	v_cmp_gt_u32_e64 s[0:1], s30, v0
	v_mov_b32_e32 v4, s39
	v_mov_b32_e32 v2, s37
	s_and_saveexec_b64 s[2:3], s[0:1]
	s_cbranch_execz .LBB68_2
; %bb.1:
	global_load_dwordx4 v[1:4], v[61:62], off
.LBB68_2:
	s_or_b64 exec, exec, s[2:3]
	v_or_b32_e32 v5, 64, v0
	v_cmp_gt_u32_e64 s[2:3], s30, v5
	v_mov_b32_e32 v7, s38
	v_mov_b32_e32 v5, s36
	v_mov_b32_e32 v8, s39
	v_mov_b32_e32 v6, s37
	s_and_saveexec_b64 s[6:7], s[2:3]
	s_cbranch_execz .LBB68_4
; %bb.3:
	global_load_dwordx4 v[5:8], v[61:62], off offset:1024
.LBB68_4:
	s_or_b64 exec, exec, s[6:7]
	v_or_b32_e32 v9, 0x80, v0
	v_cmp_gt_u32_e64 s[12:13], s30, v9
	v_mov_b32_e32 v11, s38
	v_mov_b32_e32 v9, s36
	v_mov_b32_e32 v12, s39
	v_mov_b32_e32 v10, s37
	s_and_saveexec_b64 s[6:7], s[12:13]
	s_cbranch_execz .LBB68_6
; %bb.5:
	global_load_dwordx4 v[9:12], v[61:62], off offset:2048
.LBB68_6:
	;; [unrolled: 12-line block ×3, first 2 shown]
	s_or_b64 exec, exec, s[8:9]
	v_or_b32_e32 v17, 0x100, v0
	v_cmp_gt_u32_e64 s[8:9], s30, v17
	v_mov_b32_e32 v19, s38
	v_mov_b32_e32 v17, s36
	;; [unrolled: 1-line block ×4, first 2 shown]
	s_and_saveexec_b64 s[10:11], s[8:9]
	s_cbranch_execz .LBB68_10
; %bb.9:
	v_add_co_u32_e32 v17, vcc, 0x1000, v61
	v_addc_co_u32_e32 v18, vcc, 0, v62, vcc
	global_load_dwordx4 v[17:20], v[17:18], off
.LBB68_10:
	s_or_b64 exec, exec, s[10:11]
	v_or_b32_e32 v21, 0x140, v0
	v_cmp_gt_u32_e64 s[10:11], s30, v21
	v_mov_b32_e32 v23, s38
	v_mov_b32_e32 v21, s36
	v_mov_b32_e32 v24, s39
	v_mov_b32_e32 v22, s37
	s_and_saveexec_b64 s[14:15], s[10:11]
	s_cbranch_execz .LBB68_12
; %bb.11:
	v_add_co_u32_e32 v21, vcc, 0x1000, v61
	v_addc_co_u32_e32 v22, vcc, 0, v62, vcc
	global_load_dwordx4 v[21:24], v[21:22], off offset:1024
.LBB68_12:
	s_or_b64 exec, exec, s[14:15]
	v_or_b32_e32 v25, 0x180, v0
	v_cmp_gt_u32_e64 s[14:15], s30, v25
	v_mov_b32_e32 v27, s38
	v_mov_b32_e32 v25, s36
	v_mov_b32_e32 v28, s39
	v_mov_b32_e32 v26, s37
	s_and_saveexec_b64 s[16:17], s[14:15]
	s_cbranch_execz .LBB68_14
; %bb.13:
	v_add_co_u32_e32 v25, vcc, 0x1000, v61
	v_addc_co_u32_e32 v26, vcc, 0, v62, vcc
	global_load_dwordx4 v[25:28], v[25:26], off offset:2048
.LBB68_14:
	;; [unrolled: 14-line block ×3, first 2 shown]
	s_or_b64 exec, exec, s[18:19]
	v_or_b32_e32 v33, 0x200, v0
	v_cmp_gt_u32_e64 s[18:19], s30, v33
	v_mov_b32_e32 v35, s38
	v_mov_b32_e32 v33, s36
	;; [unrolled: 1-line block ×4, first 2 shown]
	s_and_saveexec_b64 s[20:21], s[18:19]
	s_cbranch_execz .LBB68_18
; %bb.17:
	v_add_co_u32_e32 v33, vcc, 0x2000, v61
	v_addc_co_u32_e32 v34, vcc, 0, v62, vcc
	global_load_dwordx4 v[33:36], v[33:34], off
.LBB68_18:
	s_or_b64 exec, exec, s[20:21]
	v_or_b32_e32 v37, 0x240, v0
	v_cmp_gt_u32_e64 s[20:21], s30, v37
	v_mov_b32_e32 v40, s39
	v_mov_b32_e32 v38, s37
	v_mov_b32_e32 v39, s38
	v_mov_b32_e32 v37, s36
	s_and_saveexec_b64 s[22:23], s[20:21]
	s_cbranch_execz .LBB68_20
; %bb.19:
	v_add_co_u32_e32 v37, vcc, 0x2000, v61
	v_addc_co_u32_e32 v38, vcc, 0, v62, vcc
	global_load_dwordx4 v[37:40], v[37:38], off offset:1024
.LBB68_20:
	s_or_b64 exec, exec, s[22:23]
	v_or_b32_e32 v41, 0x280, v0
	v_cmp_gt_u32_e64 s[22:23], s30, v41
	v_mov_b32_e32 v44, s39
	v_mov_b32_e32 v42, s37
	v_mov_b32_e32 v43, s38
	v_mov_b32_e32 v41, s36
	s_and_saveexec_b64 s[24:25], s[22:23]
	s_cbranch_execz .LBB68_22
; %bb.21:
	v_add_co_u32_e32 v41, vcc, 0x2000, v61
	v_addc_co_u32_e32 v42, vcc, 0, v62, vcc
	global_load_dwordx4 v[41:44], v[41:42], off offset:2048
.LBB68_22:
	;; [unrolled: 14-line block ×3, first 2 shown]
	s_or_b64 exec, exec, s[26:27]
	v_or_b32_e32 v49, 0x300, v0
	v_cmp_gt_u32_e64 s[26:27], s30, v49
	v_mov_b32_e32 v52, s39
	v_mov_b32_e32 v50, s37
	;; [unrolled: 1-line block ×4, first 2 shown]
	s_and_saveexec_b64 s[28:29], s[26:27]
	s_cbranch_execz .LBB68_26
; %bb.25:
	v_add_co_u32_e32 v49, vcc, 0x3000, v61
	v_addc_co_u32_e32 v50, vcc, 0, v62, vcc
	global_load_dwordx4 v[49:52], v[49:50], off
.LBB68_26:
	s_or_b64 exec, exec, s[28:29]
	v_or_b32_e32 v53, 0x340, v0
	v_cmp_gt_u32_e64 s[28:29], s30, v53
	v_mov_b32_e32 v56, s39
	v_mov_b32_e32 v54, s37
	;; [unrolled: 1-line block ×4, first 2 shown]
	s_and_saveexec_b64 s[34:35], s[28:29]
	s_cbranch_execz .LBB68_28
; %bb.27:
	v_add_co_u32_e32 v53, vcc, 0x3000, v61
	v_addc_co_u32_e32 v54, vcc, 0, v62, vcc
	global_load_dwordx4 v[53:56], v[53:54], off offset:1024
.LBB68_28:
	s_or_b64 exec, exec, s[34:35]
	v_or_b32_e32 v57, 0x380, v0
	v_cmp_gt_u32_e64 s[30:31], s30, v57
	v_mov_b32_e32 v60, s39
	v_mov_b32_e32 v58, s37
	;; [unrolled: 1-line block ×4, first 2 shown]
	s_and_saveexec_b64 s[34:35], s[30:31]
	s_cbranch_execz .LBB68_30
; %bb.29:
	v_add_co_u32_e32 v57, vcc, 0x3000, v61
	v_addc_co_u32_e32 v58, vcc, 0, v62, vcc
	global_load_dwordx4 v[57:60], v[57:58], off offset:2048
.LBB68_30:
	s_or_b64 exec, exec, s[34:35]
	s_movk_i32 s33, 0xe0
	v_mad_u32_u24 v63, v0, s33, v129
	s_waitcnt vmcnt(0)
	ds_write_b128 v129, v[1:4]
	ds_write_b128 v129, v[5:8] offset:1024
	ds_write_b128 v129, v[9:12] offset:2048
	ds_write_b128 v129, v[13:16] offset:3072
	ds_write_b128 v129, v[17:20] offset:4096
	ds_write_b128 v129, v[21:24] offset:5120
	ds_write_b128 v129, v[25:28] offset:6144
	ds_write_b128 v129, v[29:32] offset:7168
	ds_write_b128 v129, v[33:36] offset:8192
	ds_write_b128 v129, v[37:40] offset:9216
	ds_write_b128 v129, v[41:44] offset:10240
	ds_write_b128 v129, v[45:48] offset:11264
	ds_write_b128 v129, v[49:52] offset:12288
	ds_write_b128 v129, v[53:56] offset:13312
	ds_write_b128 v129, v[57:60] offset:14336
	s_waitcnt lgkmcnt(0)
	; wave barrier
	ds_read_b128 v[1:4], v63
	ds_read_b128 v[37:40], v63 offset:16
	ds_read_b128 v[77:80], v63 offset:32
	;; [unrolled: 1-line block ×9, first 2 shown]
	s_waitcnt lgkmcnt(8)
	v_mul_f64 v[5:6], v[1:2], v[39:40]
	v_mul_f64 v[9:10], v[3:4], v[39:40]
	ds_read_b128 v[105:108], v63 offset:160
	ds_read_b128 v[89:92], v63 offset:176
	ds_read_b128 v[109:112], v63 offset:192
	ds_read_b128 v[97:100], v63 offset:208
	ds_read_b128 v[113:116], v63 offset:224
	v_mbcnt_lo_u32_b32 v117, -1, 0
	v_mbcnt_hi_u32_b32 v130, -1, v117
	v_and_b32_e32 v131, 15, v130
	v_fma_f64 v[7:8], v[3:4], v[37:38], v[5:6]
	v_fma_f64 v[5:6], v[1:2], v[37:38], -v[9:10]
	v_cmp_ne_u32_e32 vcc, 0, v131
	s_waitcnt lgkmcnt(0)
	; wave barrier
	v_mul_f64 v[9:10], v[7:8], v[79:80]
	v_mul_f64 v[11:12], v[5:6], v[79:80]
	v_fma_f64 v[9:10], v[77:78], v[5:6], -v[9:10]
	v_fma_f64 v[11:12], v[77:78], v[7:8], v[11:12]
	v_mul_f64 v[13:14], v[9:10], v[67:68]
	v_mul_f64 v[17:18], v[11:12], v[67:68]
	v_fma_f64 v[15:16], v[65:66], v[11:12], v[13:14]
	v_fma_f64 v[13:14], v[65:66], v[9:10], -v[17:18]
	v_mul_f64 v[17:18], v[15:16], v[87:88]
	v_mul_f64 v[19:20], v[13:14], v[87:88]
	v_fma_f64 v[17:18], v[85:86], v[13:14], -v[17:18]
	v_fma_f64 v[19:20], v[85:86], v[15:16], v[19:20]
	v_mul_f64 v[21:22], v[17:18], v[71:72]
	v_mul_f64 v[25:26], v[19:20], v[71:72]
	v_fma_f64 v[23:24], v[69:70], v[19:20], v[21:22]
	v_fma_f64 v[21:22], v[69:70], v[17:18], -v[25:26]
	;; [unrolled: 8-line block ×6, first 2 shown]
	v_mul_f64 v[61:62], v[59:60], v[115:116]
	v_mul_f64 v[63:64], v[57:58], v[115:116]
	v_fma_f64 v[61:62], v[113:114], v[57:58], -v[61:62]
	v_fma_f64 v[63:64], v[113:114], v[59:60], v[63:64]
	v_mov_b32_e32 v118, v62
	v_mov_b32_e32 v120, v64
	v_mov_b32_dpp v125, v61 row_shr:1 row_mask:0xf bank_mask:0xf
	v_mov_b32_dpp v126, v62 row_shr:1 row_mask:0xf bank_mask:0xf
	v_mov_b32_dpp v127, v63 row_shr:1 row_mask:0xf bank_mask:0xf
	v_mov_b32_dpp v128, v64 row_shr:1 row_mask:0xf bank_mask:0xf
	v_mov_b32_e32 v117, v61
	v_mov_b32_e32 v119, v63
	;; [unrolled: 1-line block ×6, first 2 shown]
	s_and_saveexec_b64 s[34:35], vcc
	s_cbranch_execz .LBB68_32
; %bb.31:
	v_mul_f64 v[117:118], v[61:62], v[127:128]
	v_mul_f64 v[121:122], v[63:64], v[127:128]
	v_fma_f64 v[119:120], v[63:64], v[125:126], v[117:118]
	v_fma_f64 v[117:118], v[61:62], v[125:126], -v[121:122]
	v_mov_b32_e32 v122, v120
	v_mov_b32_e32 v121, v119
	;; [unrolled: 1-line block ×4, first 2 shown]
.LBB68_32:
	s_or_b64 exec, exec, s[34:35]
	s_nop 0
	v_mov_b32_dpp v125, v123 row_shr:2 row_mask:0xf bank_mask:0xf
	v_mov_b32_dpp v126, v124 row_shr:2 row_mask:0xf bank_mask:0xf
	v_mov_b32_dpp v127, v121 row_shr:2 row_mask:0xf bank_mask:0xf
	v_mov_b32_dpp v128, v122 row_shr:2 row_mask:0xf bank_mask:0xf
	v_cmp_lt_u32_e32 vcc, 1, v131
	s_and_saveexec_b64 s[34:35], vcc
	s_cbranch_execz .LBB68_34
; %bb.33:
	v_mul_f64 v[121:122], v[117:118], v[127:128]
	v_mul_f64 v[123:124], v[119:120], v[127:128]
	v_fma_f64 v[121:122], v[119:120], v[125:126], v[121:122]
	v_fma_f64 v[123:124], v[117:118], v[125:126], -v[123:124]
	v_mov_b32_e32 v119, v121
	v_mov_b32_e32 v117, v123
	v_mov_b32_e32 v120, v122
	v_mov_b32_e32 v118, v124
.LBB68_34:
	s_or_b64 exec, exec, s[34:35]
	v_mov_b32_dpp v125, v123 row_shr:4 row_mask:0xf bank_mask:0xf
	v_mov_b32_dpp v126, v124 row_shr:4 row_mask:0xf bank_mask:0xf
	v_mov_b32_dpp v127, v121 row_shr:4 row_mask:0xf bank_mask:0xf
	v_mov_b32_dpp v128, v122 row_shr:4 row_mask:0xf bank_mask:0xf
	v_cmp_lt_u32_e32 vcc, 3, v131
	s_and_saveexec_b64 s[34:35], vcc
	s_cbranch_execz .LBB68_36
; %bb.35:
	v_mul_f64 v[121:122], v[117:118], v[127:128]
	v_mul_f64 v[123:124], v[119:120], v[127:128]
	v_fma_f64 v[121:122], v[119:120], v[125:126], v[121:122]
	v_fma_f64 v[123:124], v[117:118], v[125:126], -v[123:124]
	v_mov_b32_e32 v119, v121
	v_mov_b32_e32 v117, v123
	v_mov_b32_e32 v120, v122
	v_mov_b32_e32 v118, v124
.LBB68_36:
	s_or_b64 exec, exec, s[34:35]
	;; [unrolled: 18-line block ×3, first 2 shown]
	v_and_b32_e32 v131, 16, v130
	v_mov_b32_dpp v125, v123 row_bcast:15 row_mask:0xf bank_mask:0xf
	v_mov_b32_dpp v126, v124 row_bcast:15 row_mask:0xf bank_mask:0xf
	;; [unrolled: 1-line block ×4, first 2 shown]
	v_cmp_ne_u32_e32 vcc, 0, v131
	s_and_saveexec_b64 s[34:35], vcc
	s_cbranch_execz .LBB68_40
; %bb.39:
	v_mul_f64 v[121:122], v[117:118], v[127:128]
	v_mul_f64 v[123:124], v[119:120], v[127:128]
	v_fma_f64 v[121:122], v[119:120], v[125:126], v[121:122]
	v_fma_f64 v[117:118], v[117:118], v[125:126], -v[123:124]
	v_mov_b32_e32 v119, v121
	v_mov_b32_e32 v120, v122
	;; [unrolled: 1-line block ×4, first 2 shown]
.LBB68_40:
	s_or_b64 exec, exec, s[34:35]
	s_nop 0
	v_mov_b32_dpp v123, v123 row_bcast:31 row_mask:0xf bank_mask:0xf
	v_mov_b32_dpp v124, v124 row_bcast:31 row_mask:0xf bank_mask:0xf
	;; [unrolled: 1-line block ×4, first 2 shown]
	v_cmp_lt_u32_e32 vcc, 31, v130
	s_and_saveexec_b64 s[34:35], vcc
	s_cbranch_execz .LBB68_42
; %bb.41:
	v_mul_f64 v[125:126], v[117:118], v[121:122]
	v_mul_f64 v[121:122], v[119:120], v[121:122]
	v_fma_f64 v[119:120], v[119:120], v[123:124], v[125:126]
	v_fma_f64 v[117:118], v[117:118], v[123:124], -v[121:122]
.LBB68_42:
	s_or_b64 exec, exec, s[34:35]
	v_cmp_eq_u32_e32 vcc, 63, v0
	s_and_saveexec_b64 s[34:35], vcc
; %bb.43:
	v_mov_b32_e32 v121, 0
	ds_write_b128 v121, v[117:120]
; %bb.44:
	s_or_b64 exec, exec, s[34:35]
	v_add_u32_e32 v121, -1, v130
	v_and_b32_e32 v122, 64, v130
	v_cmp_lt_i32_e32 vcc, v121, v122
	v_cndmask_b32_e32 v121, v121, v130, vcc
	v_lshlrev_b32_e32 v121, 2, v121
	ds_bpermute_b32 v117, v121, v117
	ds_bpermute_b32 v118, v121, v118
	;; [unrolled: 1-line block ×4, first 2 shown]
	v_mul_u32_u24_e32 v121, 0xe0, v0
	v_cmp_ne_u32_e32 vcc, 0, v0
	s_waitcnt lgkmcnt(0)
	; wave barrier
	s_and_saveexec_b64 s[34:35], vcc
	s_cbranch_execz .LBB68_46
; %bb.45:
	v_mul_f64 v[5:6], v[3:4], v[119:120]
	v_mul_f64 v[7:8], v[1:2], v[119:120]
	v_fma_f64 v[0:1], v[1:2], v[117:118], -v[5:6]
	v_fma_f64 v[3:4], v[3:4], v[117:118], v[7:8]
	v_mul_f64 v[5:6], v[39:40], v[0:1]
	v_mul_f64 v[9:10], v[39:40], v[3:4]
	v_fma_f64 v[7:8], v[37:38], v[3:4], v[5:6]
	v_fma_f64 v[5:6], v[37:38], v[0:1], -v[9:10]
	v_mov_b32_e32 v2, v1
	v_mov_b32_e32 v1, v0
	v_mul_f64 v[9:10], v[79:80], v[7:8]
	v_mul_f64 v[11:12], v[79:80], v[5:6]
	v_fma_f64 v[9:10], v[77:78], v[5:6], -v[9:10]
	v_fma_f64 v[11:12], v[77:78], v[7:8], v[11:12]
	v_mul_f64 v[13:14], v[67:68], v[9:10]
	v_mul_f64 v[17:18], v[67:68], v[11:12]
	v_fma_f64 v[15:16], v[65:66], v[11:12], v[13:14]
	v_fma_f64 v[13:14], v[65:66], v[9:10], -v[17:18]
	v_mul_f64 v[17:18], v[87:88], v[15:16]
	v_mul_f64 v[19:20], v[87:88], v[13:14]
	v_fma_f64 v[17:18], v[85:86], v[13:14], -v[17:18]
	v_fma_f64 v[19:20], v[85:86], v[15:16], v[19:20]
	v_mul_f64 v[21:22], v[71:72], v[17:18]
	v_mul_f64 v[25:26], v[71:72], v[19:20]
	v_fma_f64 v[23:24], v[69:70], v[19:20], v[21:22]
	v_fma_f64 v[21:22], v[69:70], v[17:18], -v[25:26]
	;; [unrolled: 8-line block ×6, first 2 shown]
	v_mul_f64 v[37:38], v[115:116], v[59:60]
	v_mul_f64 v[39:40], v[115:116], v[57:58]
	v_fma_f64 v[61:62], v[113:114], v[57:58], -v[37:38]
	v_fma_f64 v[63:64], v[113:114], v[59:60], v[39:40]
.LBB68_46:
	s_or_b64 exec, exec, s[34:35]
	v_add_u32_e32 v0, v129, v121
	; wave barrier
	ds_write_b128 v0, v[1:4]
	ds_write_b128 v0, v[5:8] offset:16
	ds_write_b128 v0, v[9:12] offset:32
	;; [unrolled: 1-line block ×14, first 2 shown]
	s_waitcnt lgkmcnt(0)
	; wave barrier
	ds_read_b128 v[52:55], v129 offset:1024
	ds_read_b128 v[48:51], v129 offset:2048
	;; [unrolled: 1-line block ×14, first 2 shown]
	s_load_dwordx2 s[4:5], s[4:5], 0x20
	s_waitcnt lgkmcnt(0)
	v_mov_b32_e32 v57, s5
	v_add_co_u32_e32 v56, vcc, s4, v129
	v_addc_co_u32_e32 v57, vcc, 0, v57, vcc
	s_and_saveexec_b64 s[4:5], s[0:1]
	s_cbranch_execnz .LBB68_62
; %bb.47:
	s_or_b64 exec, exec, s[4:5]
	s_and_saveexec_b64 s[0:1], s[2:3]
	s_cbranch_execnz .LBB68_63
.LBB68_48:
	s_or_b64 exec, exec, s[0:1]
	s_and_saveexec_b64 s[0:1], s[12:13]
	s_cbranch_execnz .LBB68_64
.LBB68_49:
	s_or_b64 exec, exec, s[0:1]
	s_and_saveexec_b64 s[0:1], s[6:7]
	s_cbranch_execnz .LBB68_65
.LBB68_50:
	s_or_b64 exec, exec, s[0:1]
	s_and_saveexec_b64 s[0:1], s[8:9]
	s_cbranch_execnz .LBB68_66
.LBB68_51:
	s_or_b64 exec, exec, s[0:1]
	s_and_saveexec_b64 s[0:1], s[10:11]
	s_cbranch_execnz .LBB68_67
.LBB68_52:
	s_or_b64 exec, exec, s[0:1]
	s_and_saveexec_b64 s[0:1], s[14:15]
	s_cbranch_execnz .LBB68_68
.LBB68_53:
	s_or_b64 exec, exec, s[0:1]
	s_and_saveexec_b64 s[0:1], s[16:17]
	s_cbranch_execnz .LBB68_69
.LBB68_54:
	s_or_b64 exec, exec, s[0:1]
	s_and_saveexec_b64 s[0:1], s[18:19]
	s_cbranch_execnz .LBB68_70
.LBB68_55:
	s_or_b64 exec, exec, s[0:1]
	s_and_saveexec_b64 s[0:1], s[20:21]
	s_cbranch_execnz .LBB68_71
.LBB68_56:
	s_or_b64 exec, exec, s[0:1]
	s_and_saveexec_b64 s[0:1], s[22:23]
	s_cbranch_execnz .LBB68_72
.LBB68_57:
	s_or_b64 exec, exec, s[0:1]
	s_and_saveexec_b64 s[0:1], s[24:25]
	s_cbranch_execnz .LBB68_73
.LBB68_58:
	s_or_b64 exec, exec, s[0:1]
	s_and_saveexec_b64 s[0:1], s[26:27]
	s_cbranch_execnz .LBB68_74
.LBB68_59:
	s_or_b64 exec, exec, s[0:1]
	s_and_saveexec_b64 s[0:1], s[28:29]
	s_cbranch_execnz .LBB68_75
.LBB68_60:
	s_or_b64 exec, exec, s[0:1]
	s_and_saveexec_b64 s[0:1], s[30:31]
	s_cbranch_execnz .LBB68_76
.LBB68_61:
	s_endpgm
.LBB68_62:
	ds_read_b128 v[58:61], v129
	s_waitcnt lgkmcnt(0)
	global_store_dwordx4 v[56:57], v[58:61], off
	s_or_b64 exec, exec, s[4:5]
	s_and_saveexec_b64 s[0:1], s[2:3]
	s_cbranch_execz .LBB68_48
.LBB68_63:
	global_store_dwordx4 v[56:57], v[52:55], off offset:1024
	s_or_b64 exec, exec, s[0:1]
	s_and_saveexec_b64 s[0:1], s[12:13]
	s_cbranch_execz .LBB68_49
.LBB68_64:
	global_store_dwordx4 v[56:57], v[48:51], off offset:2048
	s_or_b64 exec, exec, s[0:1]
	s_and_saveexec_b64 s[0:1], s[6:7]
	s_cbranch_execz .LBB68_50
.LBB68_65:
	global_store_dwordx4 v[56:57], v[44:47], off offset:3072
	s_or_b64 exec, exec, s[0:1]
	s_and_saveexec_b64 s[0:1], s[8:9]
	s_cbranch_execz .LBB68_51
.LBB68_66:
	v_add_co_u32_e32 v44, vcc, 0x1000, v56
	v_addc_co_u32_e32 v45, vcc, 0, v57, vcc
	global_store_dwordx4 v[44:45], v[40:43], off
	s_or_b64 exec, exec, s[0:1]
	s_and_saveexec_b64 s[0:1], s[10:11]
	s_cbranch_execz .LBB68_52
.LBB68_67:
	v_add_co_u32_e32 v40, vcc, 0x1000, v56
	v_addc_co_u32_e32 v41, vcc, 0, v57, vcc
	global_store_dwordx4 v[40:41], v[36:39], off offset:1024
	s_or_b64 exec, exec, s[0:1]
	s_and_saveexec_b64 s[0:1], s[14:15]
	s_cbranch_execz .LBB68_53
.LBB68_68:
	v_add_co_u32_e32 v36, vcc, 0x1000, v56
	v_addc_co_u32_e32 v37, vcc, 0, v57, vcc
	global_store_dwordx4 v[36:37], v[32:35], off offset:2048
	s_or_b64 exec, exec, s[0:1]
	s_and_saveexec_b64 s[0:1], s[16:17]
	s_cbranch_execz .LBB68_54
.LBB68_69:
	v_add_co_u32_e32 v32, vcc, 0x1000, v56
	v_addc_co_u32_e32 v33, vcc, 0, v57, vcc
	global_store_dwordx4 v[32:33], v[28:31], off offset:3072
	s_or_b64 exec, exec, s[0:1]
	s_and_saveexec_b64 s[0:1], s[18:19]
	s_cbranch_execz .LBB68_55
.LBB68_70:
	v_add_co_u32_e32 v28, vcc, 0x2000, v56
	v_addc_co_u32_e32 v29, vcc, 0, v57, vcc
	global_store_dwordx4 v[28:29], v[24:27], off
	s_or_b64 exec, exec, s[0:1]
	s_and_saveexec_b64 s[0:1], s[20:21]
	s_cbranch_execz .LBB68_56
.LBB68_71:
	v_add_co_u32_e32 v24, vcc, 0x2000, v56
	v_addc_co_u32_e32 v25, vcc, 0, v57, vcc
	global_store_dwordx4 v[24:25], v[20:23], off offset:1024
	s_or_b64 exec, exec, s[0:1]
	s_and_saveexec_b64 s[0:1], s[22:23]
	s_cbranch_execz .LBB68_57
.LBB68_72:
	v_add_co_u32_e32 v20, vcc, 0x2000, v56
	v_addc_co_u32_e32 v21, vcc, 0, v57, vcc
	global_store_dwordx4 v[20:21], v[16:19], off offset:2048
	s_or_b64 exec, exec, s[0:1]
	s_and_saveexec_b64 s[0:1], s[24:25]
	s_cbranch_execz .LBB68_58
.LBB68_73:
	v_add_co_u32_e32 v16, vcc, 0x2000, v56
	v_addc_co_u32_e32 v17, vcc, 0, v57, vcc
	global_store_dwordx4 v[16:17], v[12:15], off offset:3072
	s_or_b64 exec, exec, s[0:1]
	s_and_saveexec_b64 s[0:1], s[26:27]
	s_cbranch_execz .LBB68_59
.LBB68_74:
	v_add_co_u32_e32 v12, vcc, 0x3000, v56
	v_addc_co_u32_e32 v13, vcc, 0, v57, vcc
	global_store_dwordx4 v[12:13], v[8:11], off
	s_or_b64 exec, exec, s[0:1]
	s_and_saveexec_b64 s[0:1], s[28:29]
	s_cbranch_execz .LBB68_60
.LBB68_75:
	v_add_co_u32_e32 v8, vcc, 0x3000, v56
	v_addc_co_u32_e32 v9, vcc, 0, v57, vcc
	global_store_dwordx4 v[8:9], v[4:7], off offset:1024
	s_or_b64 exec, exec, s[0:1]
	s_and_saveexec_b64 s[0:1], s[30:31]
	s_cbranch_execz .LBB68_61
.LBB68_76:
	v_add_co_u32_e32 v4, vcc, 0x3000, v56
	v_addc_co_u32_e32 v5, vcc, 0, v57, vcc
	global_store_dwordx4 v[4:5], v[0:3], off offset:2048
	s_endpgm
	.section	.rodata,"a",@progbits
	.p2align	6, 0x0
	.amdhsa_kernel _ZN7rocprim17ROCPRIM_304000_NS6detail18single_scan_kernelILb0ENS1_19wrapped_scan_configINS0_14default_configEN3c107complexIdEEEEPKS7_PS7_St10multipliesIS7_ES7_S7_EEvT1_mT4_T2_T3_
		.amdhsa_group_segment_fixed_size 15360
		.amdhsa_private_segment_fixed_size 0
		.amdhsa_kernarg_size 44
		.amdhsa_user_sgpr_count 6
		.amdhsa_user_sgpr_private_segment_buffer 1
		.amdhsa_user_sgpr_dispatch_ptr 0
		.amdhsa_user_sgpr_queue_ptr 0
		.amdhsa_user_sgpr_kernarg_segment_ptr 1
		.amdhsa_user_sgpr_dispatch_id 0
		.amdhsa_user_sgpr_flat_scratch_init 0
		.amdhsa_user_sgpr_private_segment_size 0
		.amdhsa_uses_dynamic_stack 0
		.amdhsa_system_sgpr_private_segment_wavefront_offset 0
		.amdhsa_system_sgpr_workgroup_id_x 1
		.amdhsa_system_sgpr_workgroup_id_y 0
		.amdhsa_system_sgpr_workgroup_id_z 0
		.amdhsa_system_sgpr_workgroup_info 0
		.amdhsa_system_vgpr_workitem_id 0
		.amdhsa_next_free_vgpr 132
		.amdhsa_next_free_sgpr 98
		.amdhsa_reserve_vcc 1
		.amdhsa_reserve_flat_scratch 0
		.amdhsa_float_round_mode_32 0
		.amdhsa_float_round_mode_16_64 0
		.amdhsa_float_denorm_mode_32 3
		.amdhsa_float_denorm_mode_16_64 3
		.amdhsa_dx10_clamp 1
		.amdhsa_ieee_mode 1
		.amdhsa_fp16_overflow 0
		.amdhsa_exception_fp_ieee_invalid_op 0
		.amdhsa_exception_fp_denorm_src 0
		.amdhsa_exception_fp_ieee_div_zero 0
		.amdhsa_exception_fp_ieee_overflow 0
		.amdhsa_exception_fp_ieee_underflow 0
		.amdhsa_exception_fp_ieee_inexact 0
		.amdhsa_exception_int_div_zero 0
	.end_amdhsa_kernel
	.section	.text._ZN7rocprim17ROCPRIM_304000_NS6detail18single_scan_kernelILb0ENS1_19wrapped_scan_configINS0_14default_configEN3c107complexIdEEEEPKS7_PS7_St10multipliesIS7_ES7_S7_EEvT1_mT4_T2_T3_,"axG",@progbits,_ZN7rocprim17ROCPRIM_304000_NS6detail18single_scan_kernelILb0ENS1_19wrapped_scan_configINS0_14default_configEN3c107complexIdEEEEPKS7_PS7_St10multipliesIS7_ES7_S7_EEvT1_mT4_T2_T3_,comdat
.Lfunc_end68:
	.size	_ZN7rocprim17ROCPRIM_304000_NS6detail18single_scan_kernelILb0ENS1_19wrapped_scan_configINS0_14default_configEN3c107complexIdEEEEPKS7_PS7_St10multipliesIS7_ES7_S7_EEvT1_mT4_T2_T3_, .Lfunc_end68-_ZN7rocprim17ROCPRIM_304000_NS6detail18single_scan_kernelILb0ENS1_19wrapped_scan_configINS0_14default_configEN3c107complexIdEEEEPKS7_PS7_St10multipliesIS7_ES7_S7_EEvT1_mT4_T2_T3_
                                        ; -- End function
	.set _ZN7rocprim17ROCPRIM_304000_NS6detail18single_scan_kernelILb0ENS1_19wrapped_scan_configINS0_14default_configEN3c107complexIdEEEEPKS7_PS7_St10multipliesIS7_ES7_S7_EEvT1_mT4_T2_T3_.num_vgpr, 132
	.set _ZN7rocprim17ROCPRIM_304000_NS6detail18single_scan_kernelILb0ENS1_19wrapped_scan_configINS0_14default_configEN3c107complexIdEEEEPKS7_PS7_St10multipliesIS7_ES7_S7_EEvT1_mT4_T2_T3_.num_agpr, 0
	.set _ZN7rocprim17ROCPRIM_304000_NS6detail18single_scan_kernelILb0ENS1_19wrapped_scan_configINS0_14default_configEN3c107complexIdEEEEPKS7_PS7_St10multipliesIS7_ES7_S7_EEvT1_mT4_T2_T3_.numbered_sgpr, 40
	.set _ZN7rocprim17ROCPRIM_304000_NS6detail18single_scan_kernelILb0ENS1_19wrapped_scan_configINS0_14default_configEN3c107complexIdEEEEPKS7_PS7_St10multipliesIS7_ES7_S7_EEvT1_mT4_T2_T3_.num_named_barrier, 0
	.set _ZN7rocprim17ROCPRIM_304000_NS6detail18single_scan_kernelILb0ENS1_19wrapped_scan_configINS0_14default_configEN3c107complexIdEEEEPKS7_PS7_St10multipliesIS7_ES7_S7_EEvT1_mT4_T2_T3_.private_seg_size, 0
	.set _ZN7rocprim17ROCPRIM_304000_NS6detail18single_scan_kernelILb0ENS1_19wrapped_scan_configINS0_14default_configEN3c107complexIdEEEEPKS7_PS7_St10multipliesIS7_ES7_S7_EEvT1_mT4_T2_T3_.uses_vcc, 1
	.set _ZN7rocprim17ROCPRIM_304000_NS6detail18single_scan_kernelILb0ENS1_19wrapped_scan_configINS0_14default_configEN3c107complexIdEEEEPKS7_PS7_St10multipliesIS7_ES7_S7_EEvT1_mT4_T2_T3_.uses_flat_scratch, 0
	.set _ZN7rocprim17ROCPRIM_304000_NS6detail18single_scan_kernelILb0ENS1_19wrapped_scan_configINS0_14default_configEN3c107complexIdEEEEPKS7_PS7_St10multipliesIS7_ES7_S7_EEvT1_mT4_T2_T3_.has_dyn_sized_stack, 0
	.set _ZN7rocprim17ROCPRIM_304000_NS6detail18single_scan_kernelILb0ENS1_19wrapped_scan_configINS0_14default_configEN3c107complexIdEEEEPKS7_PS7_St10multipliesIS7_ES7_S7_EEvT1_mT4_T2_T3_.has_recursion, 0
	.set _ZN7rocprim17ROCPRIM_304000_NS6detail18single_scan_kernelILb0ENS1_19wrapped_scan_configINS0_14default_configEN3c107complexIdEEEEPKS7_PS7_St10multipliesIS7_ES7_S7_EEvT1_mT4_T2_T3_.has_indirect_call, 0
	.section	.AMDGPU.csdata,"",@progbits
; Kernel info:
; codeLenInByte = 3752
; TotalNumSgprs: 44
; NumVgprs: 132
; ScratchSize: 0
; MemoryBound: 1
; FloatMode: 240
; IeeeMode: 1
; LDSByteSize: 15360 bytes/workgroup (compile time only)
; SGPRBlocks: 12
; VGPRBlocks: 32
; NumSGPRsForWavesPerEU: 102
; NumVGPRsForWavesPerEU: 132
; Occupancy: 1
; WaveLimiterHint : 0
; COMPUTE_PGM_RSRC2:SCRATCH_EN: 0
; COMPUTE_PGM_RSRC2:USER_SGPR: 6
; COMPUTE_PGM_RSRC2:TRAP_HANDLER: 0
; COMPUTE_PGM_RSRC2:TGID_X_EN: 1
; COMPUTE_PGM_RSRC2:TGID_Y_EN: 0
; COMPUTE_PGM_RSRC2:TGID_Z_EN: 0
; COMPUTE_PGM_RSRC2:TIDIG_COMP_CNT: 0
	.section	.text._ZN2at6native32tensor_kernel_scan_innermost_dimIN3c107complexIdEESt10multipliesIS4_EEEvPT_PKS7_jjjS7_T0_,"axG",@progbits,_ZN2at6native32tensor_kernel_scan_innermost_dimIN3c107complexIdEESt10multipliesIS4_EEEvPT_PKS7_jjjS7_T0_,comdat
	.protected	_ZN2at6native32tensor_kernel_scan_innermost_dimIN3c107complexIdEESt10multipliesIS4_EEEvPT_PKS7_jjjS7_T0_ ; -- Begin function _ZN2at6native32tensor_kernel_scan_innermost_dimIN3c107complexIdEESt10multipliesIS4_EEEvPT_PKS7_jjjS7_T0_
	.globl	_ZN2at6native32tensor_kernel_scan_innermost_dimIN3c107complexIdEESt10multipliesIS4_EEEvPT_PKS7_jjjS7_T0_
	.p2align	8
	.type	_ZN2at6native32tensor_kernel_scan_innermost_dimIN3c107complexIdEESt10multipliesIS4_EEEvPT_PKS7_jjjS7_T0_,@function
_ZN2at6native32tensor_kernel_scan_innermost_dimIN3c107complexIdEESt10multipliesIS4_EEEvPT_PKS7_jjjS7_T0_: ; @_ZN2at6native32tensor_kernel_scan_innermost_dimIN3c107complexIdEESt10multipliesIS4_EEEvPT_PKS7_jjjS7_T0_
; %bb.0:
	s_load_dwordx8 s[12:19], s[4:5], 0x0
	v_mov_b32_e32 v2, v1
	s_load_dwordx4 s[20:23], s[4:5], 0x20
	s_waitcnt lgkmcnt(0)
	s_lshl_b32 s7, 2, s18
	v_mul_lo_u32 v1, s7, v2
	s_mul_hi_u32 s0, s16, s17
	s_cmp_lg_u32 s0, 0
	s_mov_b64 s[0:1], -1
	v_lshl_add_u32 v11, v1, 4, 0
	s_cbranch_scc1 .LBB69_30
; %bb.1:
	s_load_dword s2, s[4:5], 0x44
	s_add_u32 s0, s4, 56
	s_addc_u32 s1, s5, 0
	s_waitcnt lgkmcnt(0)
	s_lshr_b32 s2, s2, 16
	s_mul_i32 s19, s6, s2
	s_cmp_ge_u32 s19, s16
	s_cbranch_scc1 .LBB69_29
; %bb.2:
	s_load_dword s29, s[0:1], 0x0
	s_lshl_b32 s28, 1, s18
	s_cmp_lg_u32 s17, 0
	s_cselect_b64 s[8:9], -1, 0
	v_lshl_add_u32 v1, v0, 4, v11
	s_lshl_b32 s3, s7, 4
	v_cndmask_b32_e64 v3, 0, 1, s[8:9]
	v_lshl_add_u32 v12, s28, 4, v1
	v_cmp_eq_u32_e64 s[0:1], 0, v0
	v_add3_u32 v13, v11, s3, -16
	s_waitcnt lgkmcnt(0)
	s_mul_i32 s29, s29, s2
	s_add_i32 s30, s18, 1
	v_cmp_ne_u32_e64 s[2:3], 1, v3
	v_mov_b32_e32 v8, 0
	s_branch .LBB69_4
.LBB69_3:                               ;   in Loop: Header=BB69_4 Depth=1
	s_add_i32 s19, s19, s29
	s_cmp_ge_u32 s19, s16
	s_cbranch_scc1 .LBB69_29
.LBB69_4:                               ; =>This Loop Header: Depth=1
                                        ;     Child Loop BB69_7 Depth 2
                                        ;       Child Loop BB69_18 Depth 3
	s_and_b64 vcc, exec, s[2:3]
	s_cbranch_vccnz .LBB69_3
; %bb.5:                                ;   in Loop: Header=BB69_4 Depth=1
	v_add_u32_e32 v5, s19, v2
	v_mul_lo_u32 v7, v5, s17
	v_mov_b32_e32 v6, s15
	v_cmp_le_u32_e64 s[8:9], s16, v5
	s_mov_b32 s31, 0
	v_lshlrev_b64 v[3:4], 4, v[7:8]
	v_add_co_u32_e32 v14, vcc, s14, v3
	v_addc_co_u32_e32 v15, vcc, v6, v4, vcc
	v_mov_b32_e32 v6, s13
	v_add_co_u32_e32 v16, vcc, s12, v3
	v_addc_co_u32_e32 v17, vcc, v6, v4, vcc
	v_cmp_gt_u32_e32 vcc, s16, v5
	v_mov_b32_e32 v3, s20
	v_mov_b32_e32 v5, s22
	;; [unrolled: 1-line block ×4, first 2 shown]
	s_branch .LBB69_7
.LBB69_6:                               ;   in Loop: Header=BB69_7 Depth=2
	s_or_b64 exec, exec, s[24:25]
	ds_read_b128 v[3:6], v13
	s_add_i32 s31, s31, s7
	s_cmp_ge_u32 s31, s17
	s_waitcnt vmcnt(0) lgkmcnt(0)
	s_barrier
	s_cbranch_scc1 .LBB69_3
.LBB69_7:                               ;   Parent Loop BB69_4 Depth=1
                                        ; =>  This Loop Header: Depth=2
                                        ;       Child Loop BB69_18 Depth 3
	v_add_u32_e32 v7, s31, v0
	v_add_u32_e32 v9, s28, v7
	s_and_saveexec_b64 s[24:25], vcc
	s_cbranch_execz .LBB69_16
; %bb.8:                                ;   in Loop: Header=BB69_7 Depth=2
	v_cmp_le_u32_e64 s[10:11], s17, v7
	s_and_saveexec_b64 s[26:27], s[10:11]
	s_xor_b64 s[10:11], exec, s[26:27]
; %bb.9:                                ;   in Loop: Header=BB69_7 Depth=2
	v_mov_b32_e32 v18, s20
	v_mov_b32_e32 v19, s21
	v_mov_b32_e32 v20, s22
	v_mov_b32_e32 v21, s23
	ds_write_b128 v1, v[18:21]
; %bb.10:                               ;   in Loop: Header=BB69_7 Depth=2
	s_andn2_saveexec_b64 s[26:27], s[10:11]
	s_cbranch_execz .LBB69_12
; %bb.11:                               ;   in Loop: Header=BB69_7 Depth=2
	v_lshlrev_b64 v[18:19], 4, v[7:8]
	v_add_co_u32_e64 v18, s[10:11], v14, v18
	v_addc_co_u32_e64 v19, s[10:11], v15, v19, s[10:11]
	global_load_dwordx4 v[18:21], v[18:19], off
	s_waitcnt vmcnt(0)
	ds_write_b128 v1, v[18:21]
.LBB69_12:                              ;   in Loop: Header=BB69_7 Depth=2
	s_or_b64 exec, exec, s[26:27]
	v_cmp_le_u32_e64 s[10:11], s17, v9
	s_and_saveexec_b64 s[26:27], s[10:11]
	s_xor_b64 s[10:11], exec, s[26:27]
	s_cbranch_execnz .LBB69_27
; %bb.13:                               ;   in Loop: Header=BB69_7 Depth=2
	s_andn2_saveexec_b64 s[26:27], s[10:11]
	s_cbranch_execnz .LBB69_28
.LBB69_14:                              ;   in Loop: Header=BB69_7 Depth=2
	s_or_b64 exec, exec, s[26:27]
	s_and_b64 exec, exec, s[0:1]
	s_cbranch_execz .LBB69_16
.LBB69_15:                              ;   in Loop: Header=BB69_7 Depth=2
	ds_read_b128 v[18:21], v11
	s_waitcnt lgkmcnt(0)
	v_mul_f64 v[22:23], v[5:6], v[20:21]
	v_mul_f64 v[20:21], v[3:4], v[20:21]
	v_fma_f64 v[3:4], v[3:4], v[18:19], -v[22:23]
	v_fma_f64 v[5:6], v[5:6], v[18:19], v[20:21]
	ds_write_b128 v11, v[3:6]
.LBB69_16:                              ;   in Loop: Header=BB69_7 Depth=2
	s_or_b64 exec, exec, s[24:25]
	v_mov_b32_e32 v3, 0
	s_mov_b64 s[24:25], 0
	s_waitcnt lgkmcnt(0)
	s_barrier
	s_branch .LBB69_18
.LBB69_17:                              ;   in Loop: Header=BB69_18 Depth=3
	s_or_b64 exec, exec, s[10:11]
	v_cmp_eq_u32_e64 s[10:11], s30, v3
	s_or_b64 s[24:25], s[10:11], s[24:25]
	s_waitcnt lgkmcnt(0)
	s_barrier
	s_andn2_b64 exec, exec, s[24:25]
	s_cbranch_execz .LBB69_22
.LBB69_18:                              ;   Parent Loop BB69_4 Depth=1
                                        ;     Parent Loop BB69_7 Depth=2
                                        ; =>    This Inner Loop Header: Depth=3
	v_add_u32_e32 v4, 1, v3
	s_and_saveexec_b64 s[10:11], s[8:9]
	s_xor_b64 s[10:11], exec, s[10:11]
; %bb.19:                               ;   in Loop: Header=BB69_18 Depth=3
	v_add_u32_e32 v3, 1, v3
                                        ; implicit-def: $vgpr4
; %bb.20:                               ;   in Loop: Header=BB69_18 Depth=3
	s_andn2_saveexec_b64 s[10:11], s[10:11]
	s_cbranch_execz .LBB69_17
; %bb.21:                               ;   in Loop: Header=BB69_18 Depth=3
	v_lshlrev_b32_e64 v5, v3, 1
	v_lshrrev_b32_e32 v6, v3, v0
	v_lshl_or_b32 v5, v6, v4, v5
	v_bfm_b32 v3, v3, 0
	v_and_b32_e32 v3, v3, v0
	v_lshl_add_u32 v5, v5, 4, v11
	v_lshl_add_u32 v3, v3, 4, v5
	v_add_u32_e32 v5, -16, v5
	ds_read_b128 v[18:21], v3
	ds_read_b128 v[22:25], v5
	s_waitcnt lgkmcnt(0)
	v_mul_f64 v[5:6], v[20:21], v[24:25]
	v_mul_f64 v[24:25], v[18:19], v[24:25]
	v_fma_f64 v[18:19], v[18:19], v[22:23], -v[5:6]
	v_fma_f64 v[20:21], v[20:21], v[22:23], v[24:25]
	ds_write_b128 v3, v[18:21]
	v_mov_b32_e32 v3, v4
	s_branch .LBB69_17
.LBB69_22:                              ;   in Loop: Header=BB69_7 Depth=2
	s_or_b64 exec, exec, s[24:25]
	s_and_saveexec_b64 s[24:25], vcc
	s_cbranch_execz .LBB69_6
; %bb.23:                               ;   in Loop: Header=BB69_7 Depth=2
	v_cmp_gt_u32_e64 s[10:11], s17, v7
	s_and_saveexec_b64 s[26:27], s[10:11]
	s_cbranch_execz .LBB69_25
; %bb.24:                               ;   in Loop: Header=BB69_7 Depth=2
	ds_read_b128 v[3:6], v1
	v_lshlrev_b64 v[18:19], 4, v[7:8]
	v_add_co_u32_e64 v18, s[10:11], v16, v18
	v_addc_co_u32_e64 v19, s[10:11], v17, v19, s[10:11]
	s_waitcnt lgkmcnt(0)
	global_store_dwordx4 v[18:19], v[3:6], off
.LBB69_25:                              ;   in Loop: Header=BB69_7 Depth=2
	s_or_b64 exec, exec, s[26:27]
	v_cmp_gt_u32_e64 s[10:11], s17, v9
	s_and_b64 exec, exec, s[10:11]
	s_cbranch_execz .LBB69_6
; %bb.26:                               ;   in Loop: Header=BB69_7 Depth=2
	v_mov_b32_e32 v10, v8
	ds_read_b128 v[3:6], v12
	v_lshlrev_b64 v[9:10], 4, v[9:10]
	v_add_co_u32_e64 v9, s[10:11], v16, v9
	v_addc_co_u32_e64 v10, s[10:11], v17, v10, s[10:11]
	s_waitcnt lgkmcnt(0)
	global_store_dwordx4 v[9:10], v[3:6], off
	s_branch .LBB69_6
.LBB69_27:                              ;   in Loop: Header=BB69_7 Depth=2
	v_mov_b32_e32 v18, s20
	v_mov_b32_e32 v19, s21
	;; [unrolled: 1-line block ×4, first 2 shown]
	ds_write_b128 v12, v[18:21]
	s_andn2_saveexec_b64 s[26:27], s[10:11]
	s_cbranch_execz .LBB69_14
.LBB69_28:                              ;   in Loop: Header=BB69_7 Depth=2
	v_mov_b32_e32 v10, v8
	v_lshlrev_b64 v[18:19], 4, v[9:10]
	v_add_co_u32_e64 v18, s[10:11], v14, v18
	v_addc_co_u32_e64 v19, s[10:11], v15, v19, s[10:11]
	global_load_dwordx4 v[18:21], v[18:19], off
	s_waitcnt vmcnt(0)
	ds_write_b128 v12, v[18:21]
	s_or_b64 exec, exec, s[26:27]
	s_and_b64 exec, exec, s[0:1]
	s_cbranch_execnz .LBB69_15
	s_branch .LBB69_16
.LBB69_29:
	s_mov_b64 s[0:1], 0
.LBB69_30:
	s_andn2_b64 vcc, exec, s[0:1]
	s_cbranch_vccnz .LBB69_61
; %bb.31:
	s_load_dword s2, s[4:5], 0x44
	s_add_u32 s0, s4, 56
	s_mov_b32 s8, s16
	s_mov_b32 s9, 0
	s_addc_u32 s1, s5, 0
	s_waitcnt lgkmcnt(0)
	s_lshr_b32 s2, s2, 16
	v_mov_b32_e32 v3, s8
	s_mul_hi_u32 s11, s2, s6
	s_mul_i32 s10, s2, s6
	v_mov_b32_e32 v4, s9
	v_cmp_ge_u64_e32 vcc, s[10:11], v[3:4]
	s_cbranch_vccnz .LBB69_61
; %bb.32:
	s_lshl_b32 s24, 1, s18
	s_load_dword s5, s[0:1], 0x0
	s_and_b32 s4, 0xffff, s2
	s_ashr_i32 s25, s24, 31
	s_cmp_lg_u32 s17, 0
	s_mov_b32 s26, s17
	s_cselect_b64 s[2:3], -1, 0
	s_lshl_b64 s[16:17], s[24:25], 1
	v_lshl_add_u32 v12, v0, 4, v11
	s_lshl_b32 s6, s16, 4
	v_cndmask_b32_e64 v3, 0, 1, s[2:3]
	v_mov_b32_e32 v1, 0
	s_mov_b32 s27, s9
	v_lshl_add_u32 v13, s24, 4, v12
	v_cmp_eq_u32_e64 s[0:1], 0, v0
	v_add3_u32 v14, v11, s6, -16
	s_waitcnt lgkmcnt(0)
	s_mul_i32 s33, s5, s4
	s_add_i32 s36, s18, 1
	v_cmp_ne_u32_e64 s[2:3], 1, v3
	s_branch .LBB69_34
.LBB69_33:                              ;   in Loop: Header=BB69_34 Depth=1
	s_add_u32 s10, s10, s33
	v_mov_b32_e32 v3, s8
	s_addc_u32 s11, s11, 0
	v_mov_b32_e32 v4, s9
	v_cmp_ge_u64_e32 vcc, s[10:11], v[3:4]
	s_cbranch_vccnz .LBB69_61
.LBB69_34:                              ; =>This Loop Header: Depth=1
                                        ;     Child Loop BB69_37 Depth 2
                                        ;       Child Loop BB69_49 Depth 3
	s_and_b64 vcc, exec, s[2:3]
	s_cbranch_vccnz .LBB69_33
; %bb.35:                               ;   in Loop: Header=BB69_34 Depth=1
	v_add_co_u32_e32 v3, vcc, s10, v2
	v_mad_u64_u32 v[5:6], s[4:5], v3, s26, 0
	v_mov_b32_e32 v4, s11
	v_addc_co_u32_e32 v4, vcc, 0, v4, vcc
	v_mad_u64_u32 v[6:7], s[4:5], v4, s26, v[6:7]
	v_mov_b32_e32 v7, s15
	v_cmp_gt_u64_e64 s[4:5], s[8:9], v[3:4]
	v_lshlrev_b64 v[5:6], 4, v[5:6]
	v_cmp_le_u64_e64 s[6:7], s[8:9], v[3:4]
	v_add_co_u32_e32 v15, vcc, s14, v5
	v_addc_co_u32_e32 v16, vcc, v7, v6, vcc
	v_mov_b32_e32 v7, s13
	v_add_co_u32_e32 v17, vcc, s12, v5
	v_addc_co_u32_e32 v18, vcc, v7, v6, vcc
	v_mov_b32_e32 v3, s20
	v_mov_b32_e32 v5, s22
	s_mov_b64 s[18:19], 0
	v_mov_b32_e32 v4, s21
	v_mov_b32_e32 v6, s23
	s_branch .LBB69_37
.LBB69_36:                              ;   in Loop: Header=BB69_37 Depth=2
	s_or_b64 exec, exec, s[28:29]
	ds_read_b128 v[3:6], v14
	s_add_u32 s18, s18, s16
	v_mov_b32_e32 v7, s26
	s_addc_u32 s19, s19, s17
	v_mov_b32_e32 v8, s27
	v_cmp_ge_u64_e32 vcc, s[18:19], v[7:8]
	s_waitcnt lgkmcnt(0)
	s_waitcnt vmcnt(0)
	s_barrier
	s_cbranch_vccnz .LBB69_33
.LBB69_37:                              ;   Parent Loop BB69_34 Depth=1
                                        ; =>  This Loop Header: Depth=2
                                        ;       Child Loop BB69_49 Depth 3
	v_mov_b32_e32 v7, s19
	v_add_co_u32_e32 v9, vcc, s18, v0
	v_addc_co_u32_e32 v10, vcc, 0, v7, vcc
	v_mov_b32_e32 v8, s25
	v_add_co_u32_e32 v7, vcc, s24, v9
	v_addc_co_u32_e32 v8, vcc, v10, v8, vcc
	s_and_saveexec_b64 s[28:29], s[4:5]
	s_cbranch_execz .LBB69_46
; %bb.38:                               ;   in Loop: Header=BB69_37 Depth=2
	v_cmp_le_u64_e32 vcc, s[26:27], v[9:10]
	s_and_saveexec_b64 s[30:31], vcc
	s_xor_b64 s[30:31], exec, s[30:31]
; %bb.39:                               ;   in Loop: Header=BB69_37 Depth=2
	v_mov_b32_e32 v19, s20
	v_mov_b32_e32 v20, s21
	;; [unrolled: 1-line block ×4, first 2 shown]
	ds_write_b128 v12, v[19:22]
; %bb.40:                               ;   in Loop: Header=BB69_37 Depth=2
	s_andn2_saveexec_b64 s[30:31], s[30:31]
	s_cbranch_execz .LBB69_42
; %bb.41:                               ;   in Loop: Header=BB69_37 Depth=2
	v_lshlrev_b64 v[19:20], 4, v[9:10]
	v_add_co_u32_e32 v19, vcc, v15, v19
	v_addc_co_u32_e32 v20, vcc, v16, v20, vcc
	global_load_dwordx4 v[19:22], v[19:20], off
	s_waitcnt vmcnt(0)
	ds_write_b128 v12, v[19:22]
.LBB69_42:                              ;   in Loop: Header=BB69_37 Depth=2
	s_or_b64 exec, exec, s[30:31]
	v_cmp_le_u64_e32 vcc, s[26:27], v[7:8]
	s_and_saveexec_b64 s[30:31], vcc
	s_xor_b64 s[30:31], exec, s[30:31]
	s_cbranch_execnz .LBB69_59
; %bb.43:                               ;   in Loop: Header=BB69_37 Depth=2
	s_andn2_saveexec_b64 s[30:31], s[30:31]
	s_cbranch_execnz .LBB69_60
.LBB69_44:                              ;   in Loop: Header=BB69_37 Depth=2
	s_or_b64 exec, exec, s[30:31]
	s_and_b64 exec, exec, s[0:1]
	s_cbranch_execz .LBB69_46
.LBB69_45:                              ;   in Loop: Header=BB69_37 Depth=2
	ds_read_b128 v[19:22], v11
	s_waitcnt lgkmcnt(0)
	v_mul_f64 v[23:24], v[5:6], v[21:22]
	v_mul_f64 v[21:22], v[3:4], v[21:22]
	v_fma_f64 v[3:4], v[3:4], v[19:20], -v[23:24]
	v_fma_f64 v[5:6], v[5:6], v[19:20], v[21:22]
	ds_write_b128 v11, v[3:6]
.LBB69_46:                              ;   in Loop: Header=BB69_37 Depth=2
	s_or_b64 exec, exec, s[28:29]
	v_mov_b32_e32 v19, 0
	s_mov_b64 s[28:29], 0
	s_waitcnt lgkmcnt(0)
	s_barrier
	s_branch .LBB69_49
.LBB69_47:                              ;   in Loop: Header=BB69_49 Depth=3
	s_or_b64 exec, exec, s[34:35]
	v_lshrrev_b32_e32 v5, v19, v0
	v_lshl_or_b32 v3, v5, v6, v3
	v_lshl_add_u32 v3, v3, 4, v11
	v_lshl_add_u32 v5, v4, 4, v3
	v_add_u32_e32 v3, -16, v3
	ds_read_b128 v[19:22], v5
	ds_read_b128 v[23:26], v3
	s_waitcnt lgkmcnt(0)
	v_mul_f64 v[3:4], v[21:22], v[25:26]
	v_mul_f64 v[25:26], v[19:20], v[25:26]
	v_fma_f64 v[19:20], v[19:20], v[23:24], -v[3:4]
	v_fma_f64 v[21:22], v[21:22], v[23:24], v[25:26]
	ds_write_b128 v5, v[19:22]
.LBB69_48:                              ;   in Loop: Header=BB69_49 Depth=3
	s_or_b64 exec, exec, s[30:31]
	v_cmp_eq_u32_e32 vcc, s36, v6
	s_or_b64 s[28:29], vcc, s[28:29]
	v_mov_b32_e32 v19, v6
	s_waitcnt lgkmcnt(0)
	s_barrier
	s_andn2_b64 exec, exec, s[28:29]
	s_cbranch_execz .LBB69_54
.LBB69_49:                              ;   Parent Loop BB69_34 Depth=1
                                        ;     Parent Loop BB69_37 Depth=2
                                        ; =>    This Inner Loop Header: Depth=3
	v_add_u32_e32 v6, 1, v19
	s_and_saveexec_b64 s[30:31], s[6:7]
	s_xor_b64 s[30:31], exec, s[30:31]
; %bb.50:                               ;   in Loop: Header=BB69_49 Depth=3
	v_add_u32_e32 v6, 1, v19
                                        ; implicit-def: $vgpr19
; %bb.51:                               ;   in Loop: Header=BB69_49 Depth=3
	s_andn2_saveexec_b64 s[30:31], s[30:31]
	s_cbranch_execz .LBB69_48
; %bb.52:                               ;   in Loop: Header=BB69_49 Depth=3
	v_lshlrev_b32_e64 v3, v19, 1
	v_ashrrev_i32_e32 v4, 31, v3
	v_cmp_ge_u64_e32 vcc, v[0:1], v[3:4]
	v_mov_b32_e32 v5, v1
	v_mov_b32_e32 v4, v0
	s_and_saveexec_b64 s[34:35], vcc
	s_cbranch_execz .LBB69_47
; %bb.53:                               ;   in Loop: Header=BB69_49 Depth=3
	v_cvt_f32_u32_e32 v4, v3
	v_sub_u32_e32 v5, 0, v3
	v_rcp_iflag_f32_e32 v4, v4
	v_mul_f32_e32 v4, 0x4f7ffffe, v4
	v_cvt_u32_f32_e32 v4, v4
	v_mul_lo_u32 v5, v5, v4
	v_mul_hi_u32 v5, v4, v5
	v_add_u32_e32 v4, v4, v5
	v_mul_hi_u32 v4, v0, v4
	v_mul_lo_u32 v4, v4, v3
	v_sub_u32_e32 v4, v0, v4
	v_sub_u32_e32 v5, v4, v3
	v_cmp_ge_u32_e32 vcc, v4, v3
	v_cndmask_b32_e32 v4, v4, v5, vcc
	v_sub_u32_e32 v5, v4, v3
	v_cmp_ge_u32_e32 vcc, v4, v3
	v_cndmask_b32_e32 v4, v4, v5, vcc
	s_branch .LBB69_47
.LBB69_54:                              ;   in Loop: Header=BB69_37 Depth=2
	s_or_b64 exec, exec, s[28:29]
	s_and_saveexec_b64 s[28:29], s[4:5]
	s_cbranch_execz .LBB69_36
; %bb.55:                               ;   in Loop: Header=BB69_37 Depth=2
	v_cmp_gt_u64_e32 vcc, s[26:27], v[9:10]
	s_and_saveexec_b64 s[30:31], vcc
	s_cbranch_execz .LBB69_57
; %bb.56:                               ;   in Loop: Header=BB69_37 Depth=2
	ds_read_b128 v[3:6], v12
	v_lshlrev_b64 v[9:10], 4, v[9:10]
	v_add_co_u32_e32 v9, vcc, v17, v9
	v_addc_co_u32_e32 v10, vcc, v18, v10, vcc
	s_waitcnt lgkmcnt(0)
	global_store_dwordx4 v[9:10], v[3:6], off
.LBB69_57:                              ;   in Loop: Header=BB69_37 Depth=2
	s_or_b64 exec, exec, s[30:31]
	v_cmp_gt_u64_e32 vcc, s[26:27], v[7:8]
	s_and_b64 exec, exec, vcc
	s_cbranch_execz .LBB69_36
; %bb.58:                               ;   in Loop: Header=BB69_37 Depth=2
	ds_read_b128 v[3:6], v13
	v_lshlrev_b64 v[7:8], 4, v[7:8]
	v_add_co_u32_e32 v7, vcc, v17, v7
	v_addc_co_u32_e32 v8, vcc, v18, v8, vcc
	s_waitcnt lgkmcnt(0)
	global_store_dwordx4 v[7:8], v[3:6], off
	s_branch .LBB69_36
.LBB69_59:                              ;   in Loop: Header=BB69_37 Depth=2
	v_mov_b32_e32 v19, s20
	v_mov_b32_e32 v20, s21
	;; [unrolled: 1-line block ×4, first 2 shown]
	ds_write_b128 v13, v[19:22]
	s_andn2_saveexec_b64 s[30:31], s[30:31]
	s_cbranch_execz .LBB69_44
.LBB69_60:                              ;   in Loop: Header=BB69_37 Depth=2
	v_lshlrev_b64 v[19:20], 4, v[7:8]
	v_add_co_u32_e32 v19, vcc, v15, v19
	v_addc_co_u32_e32 v20, vcc, v16, v20, vcc
	global_load_dwordx4 v[19:22], v[19:20], off
	s_waitcnt vmcnt(0)
	ds_write_b128 v13, v[19:22]
	s_or_b64 exec, exec, s[30:31]
	s_and_b64 exec, exec, s[0:1]
	s_cbranch_execnz .LBB69_45
	s_branch .LBB69_46
.LBB69_61:
	s_endpgm
	.section	.rodata,"a",@progbits
	.p2align	6, 0x0
	.amdhsa_kernel _ZN2at6native32tensor_kernel_scan_innermost_dimIN3c107complexIdEESt10multipliesIS4_EEEvPT_PKS7_jjjS7_T0_
		.amdhsa_group_segment_fixed_size 0
		.amdhsa_private_segment_fixed_size 0
		.amdhsa_kernarg_size 312
		.amdhsa_user_sgpr_count 6
		.amdhsa_user_sgpr_private_segment_buffer 1
		.amdhsa_user_sgpr_dispatch_ptr 0
		.amdhsa_user_sgpr_queue_ptr 0
		.amdhsa_user_sgpr_kernarg_segment_ptr 1
		.amdhsa_user_sgpr_dispatch_id 0
		.amdhsa_user_sgpr_flat_scratch_init 0
		.amdhsa_user_sgpr_private_segment_size 0
		.amdhsa_uses_dynamic_stack 0
		.amdhsa_system_sgpr_private_segment_wavefront_offset 0
		.amdhsa_system_sgpr_workgroup_id_x 1
		.amdhsa_system_sgpr_workgroup_id_y 0
		.amdhsa_system_sgpr_workgroup_id_z 0
		.amdhsa_system_sgpr_workgroup_info 0
		.amdhsa_system_vgpr_workitem_id 1
		.amdhsa_next_free_vgpr 27
		.amdhsa_next_free_sgpr 37
		.amdhsa_reserve_vcc 1
		.amdhsa_reserve_flat_scratch 0
		.amdhsa_float_round_mode_32 0
		.amdhsa_float_round_mode_16_64 0
		.amdhsa_float_denorm_mode_32 3
		.amdhsa_float_denorm_mode_16_64 3
		.amdhsa_dx10_clamp 1
		.amdhsa_ieee_mode 1
		.amdhsa_fp16_overflow 0
		.amdhsa_exception_fp_ieee_invalid_op 0
		.amdhsa_exception_fp_denorm_src 0
		.amdhsa_exception_fp_ieee_div_zero 0
		.amdhsa_exception_fp_ieee_overflow 0
		.amdhsa_exception_fp_ieee_underflow 0
		.amdhsa_exception_fp_ieee_inexact 0
		.amdhsa_exception_int_div_zero 0
	.end_amdhsa_kernel
	.section	.text._ZN2at6native32tensor_kernel_scan_innermost_dimIN3c107complexIdEESt10multipliesIS4_EEEvPT_PKS7_jjjS7_T0_,"axG",@progbits,_ZN2at6native32tensor_kernel_scan_innermost_dimIN3c107complexIdEESt10multipliesIS4_EEEvPT_PKS7_jjjS7_T0_,comdat
.Lfunc_end69:
	.size	_ZN2at6native32tensor_kernel_scan_innermost_dimIN3c107complexIdEESt10multipliesIS4_EEEvPT_PKS7_jjjS7_T0_, .Lfunc_end69-_ZN2at6native32tensor_kernel_scan_innermost_dimIN3c107complexIdEESt10multipliesIS4_EEEvPT_PKS7_jjjS7_T0_
                                        ; -- End function
	.set _ZN2at6native32tensor_kernel_scan_innermost_dimIN3c107complexIdEESt10multipliesIS4_EEEvPT_PKS7_jjjS7_T0_.num_vgpr, 27
	.set _ZN2at6native32tensor_kernel_scan_innermost_dimIN3c107complexIdEESt10multipliesIS4_EEEvPT_PKS7_jjjS7_T0_.num_agpr, 0
	.set _ZN2at6native32tensor_kernel_scan_innermost_dimIN3c107complexIdEESt10multipliesIS4_EEEvPT_PKS7_jjjS7_T0_.numbered_sgpr, 37
	.set _ZN2at6native32tensor_kernel_scan_innermost_dimIN3c107complexIdEESt10multipliesIS4_EEEvPT_PKS7_jjjS7_T0_.num_named_barrier, 0
	.set _ZN2at6native32tensor_kernel_scan_innermost_dimIN3c107complexIdEESt10multipliesIS4_EEEvPT_PKS7_jjjS7_T0_.private_seg_size, 0
	.set _ZN2at6native32tensor_kernel_scan_innermost_dimIN3c107complexIdEESt10multipliesIS4_EEEvPT_PKS7_jjjS7_T0_.uses_vcc, 1
	.set _ZN2at6native32tensor_kernel_scan_innermost_dimIN3c107complexIdEESt10multipliesIS4_EEEvPT_PKS7_jjjS7_T0_.uses_flat_scratch, 0
	.set _ZN2at6native32tensor_kernel_scan_innermost_dimIN3c107complexIdEESt10multipliesIS4_EEEvPT_PKS7_jjjS7_T0_.has_dyn_sized_stack, 0
	.set _ZN2at6native32tensor_kernel_scan_innermost_dimIN3c107complexIdEESt10multipliesIS4_EEEvPT_PKS7_jjjS7_T0_.has_recursion, 0
	.set _ZN2at6native32tensor_kernel_scan_innermost_dimIN3c107complexIdEESt10multipliesIS4_EEEvPT_PKS7_jjjS7_T0_.has_indirect_call, 0
	.section	.AMDGPU.csdata,"",@progbits
; Kernel info:
; codeLenInByte = 2036
; TotalNumSgprs: 41
; NumVgprs: 27
; ScratchSize: 0
; MemoryBound: 0
; FloatMode: 240
; IeeeMode: 1
; LDSByteSize: 0 bytes/workgroup (compile time only)
; SGPRBlocks: 5
; VGPRBlocks: 6
; NumSGPRsForWavesPerEU: 41
; NumVGPRsForWavesPerEU: 27
; Occupancy: 9
; WaveLimiterHint : 0
; COMPUTE_PGM_RSRC2:SCRATCH_EN: 0
; COMPUTE_PGM_RSRC2:USER_SGPR: 6
; COMPUTE_PGM_RSRC2:TRAP_HANDLER: 0
; COMPUTE_PGM_RSRC2:TGID_X_EN: 1
; COMPUTE_PGM_RSRC2:TGID_Y_EN: 0
; COMPUTE_PGM_RSRC2:TGID_Z_EN: 0
; COMPUTE_PGM_RSRC2:TIDIG_COMP_CNT: 1
	.section	.text._ZN2at6native28tensor_kernel_scan_outer_dimIN3c107complexIdEEjSt10multipliesIS4_EEEvPT_PKS7_jjjS7_T1_,"axG",@progbits,_ZN2at6native28tensor_kernel_scan_outer_dimIN3c107complexIdEEjSt10multipliesIS4_EEEvPT_PKS7_jjjS7_T1_,comdat
	.protected	_ZN2at6native28tensor_kernel_scan_outer_dimIN3c107complexIdEEjSt10multipliesIS4_EEEvPT_PKS7_jjjS7_T1_ ; -- Begin function _ZN2at6native28tensor_kernel_scan_outer_dimIN3c107complexIdEEjSt10multipliesIS4_EEEvPT_PKS7_jjjS7_T1_
	.globl	_ZN2at6native28tensor_kernel_scan_outer_dimIN3c107complexIdEEjSt10multipliesIS4_EEEvPT_PKS7_jjjS7_T1_
	.p2align	8
	.type	_ZN2at6native28tensor_kernel_scan_outer_dimIN3c107complexIdEEjSt10multipliesIS4_EEEvPT_PKS7_jjjS7_T1_,@function
_ZN2at6native28tensor_kernel_scan_outer_dimIN3c107complexIdEEjSt10multipliesIS4_EEEvPT_PKS7_jjjS7_T1_: ; @_ZN2at6native28tensor_kernel_scan_outer_dimIN3c107complexIdEEjSt10multipliesIS4_EEEvPT_PKS7_jjjS7_T1_
; %bb.0:
	s_load_dwordx4 s[8:11], s[4:5], 0x10
	s_waitcnt lgkmcnt(0)
	s_cmp_ge_u32 s6, s8
	s_cbranch_scc1 .LBB70_9
; %bb.1:
	s_load_dword s11, s[4:5], 0x38
	s_load_dword s0, s[4:5], 0x44
	s_load_dwordx4 s[12:15], s[4:5], 0x0
	s_load_dwordx4 s[16:19], s[4:5], 0x20
	s_add_u32 s20, s4, 56
	s_addc_u32 s21, s5, 0
	s_waitcnt lgkmcnt(0)
	s_and_b32 s33, s0, 0xffff
	s_cmp_lg_u32 s10, 0
	s_mul_i32 s7, s7, s33
	s_cselect_b64 s[2:3], -1, 0
	s_mul_i32 s4, s6, s10
	v_add_u32_e32 v6, s7, v0
	s_mov_b32 s23, 0
	s_mov_b32 s22, s9
	s_mul_i32 s4, s4, s9
	s_mul_i32 s7, s11, s10
	v_cndmask_b32_e64 v0, 0, 1, s[2:3]
	v_cmp_gt_u32_e64 s[0:1], s9, v6
	s_mul_i32 s7, s7, s9
	s_lshl_b64 s[24:25], s[22:23], 4
	v_cmp_ne_u32_e64 s[2:3], 1, v0
	v_mov_b32_e32 v5, 0
	s_mov_b32 s22, s4
	s_branch .LBB70_3
.LBB70_2:                               ;   in Loop: Header=BB70_3 Depth=1
	s_or_b64 exec, exec, s[26:27]
	s_add_i32 s6, s11, s6
	s_add_i32 s22, s22, s7
	s_cmp_ge_u32 s6, s8
	s_cbranch_scc1 .LBB70_9
.LBB70_3:                               ; =>This Loop Header: Depth=1
                                        ;     Child Loop BB70_6 Depth 2
                                        ;       Child Loop BB70_8 Depth 3
	s_and_saveexec_b64 s[26:27], s[0:1]
	s_cbranch_execz .LBB70_2
; %bb.4:                                ;   in Loop: Header=BB70_3 Depth=1
	s_load_dword s34, s[20:21], 0x4
	s_lshl_b64 s[28:29], s[22:23], 4
	s_mov_b64 s[30:31], 0
	s_or_b32 s28, s28, 8
	v_mov_b32_e32 v4, v6
	s_waitcnt lgkmcnt(0)
	s_mul_i32 s34, s34, s33
	s_branch .LBB70_6
.LBB70_5:                               ;   in Loop: Header=BB70_6 Depth=2
	v_add_u32_e32 v4, s34, v4
	v_cmp_le_u32_e32 vcc, s9, v4
	s_or_b64 s[30:31], vcc, s[30:31]
	s_andn2_b64 exec, exec, s[30:31]
	s_cbranch_execz .LBB70_2
.LBB70_6:                               ;   Parent Loop BB70_3 Depth=1
                                        ; =>  This Loop Header: Depth=2
                                        ;       Child Loop BB70_8 Depth 3
	s_and_b64 vcc, exec, s[2:3]
	s_cbranch_vccnz .LBB70_5
; %bb.7:                                ;   in Loop: Header=BB70_6 Depth=2
	v_lshlrev_b64 v[0:1], 4, v[4:5]
	v_mov_b32_e32 v2, s29
	v_add_co_u32_e32 v7, vcc, s28, v0
	v_addc_co_u32_e32 v8, vcc, v2, v1, vcc
	v_mov_b32_e32 v2, s18
	v_mov_b32_e32 v0, s16
	;; [unrolled: 1-line block ×4, first 2 shown]
	s_mov_b32 s35, s10
.LBB70_8:                               ;   Parent Loop BB70_3 Depth=1
                                        ;     Parent Loop BB70_6 Depth=2
                                        ; =>    This Inner Loop Header: Depth=3
	v_mov_b32_e32 v10, s15
	v_add_co_u32_e32 v9, vcc, s14, v7
	v_addc_co_u32_e32 v10, vcc, v10, v8, vcc
	global_load_dwordx4 v[9:12], v[9:10], off offset:-8
	v_mov_b32_e32 v16, s13
	v_add_co_u32_e32 v15, vcc, s12, v7
	s_add_i32 s35, s35, -1
	v_mov_b32_e32 v17, s25
	v_add_co_u32_e64 v7, s[4:5], s24, v7
	v_addc_co_u32_e32 v16, vcc, v16, v8, vcc
	v_addc_co_u32_e64 v8, vcc, v8, v17, s[4:5]
	s_cmp_eq_u32 s35, 0
	s_waitcnt vmcnt(0)
	v_mul_f64 v[13:14], v[2:3], v[11:12]
	v_mul_f64 v[11:12], v[0:1], v[11:12]
	v_fma_f64 v[0:1], v[0:1], v[9:10], -v[13:14]
	v_fma_f64 v[2:3], v[2:3], v[9:10], v[11:12]
	global_store_dwordx4 v[15:16], v[0:3], off offset:-8
	s_cbranch_scc0 .LBB70_8
	s_branch .LBB70_5
.LBB70_9:
	s_endpgm
	.section	.rodata,"a",@progbits
	.p2align	6, 0x0
	.amdhsa_kernel _ZN2at6native28tensor_kernel_scan_outer_dimIN3c107complexIdEEjSt10multipliesIS4_EEEvPT_PKS7_jjjS7_T1_
		.amdhsa_group_segment_fixed_size 0
		.amdhsa_private_segment_fixed_size 0
		.amdhsa_kernarg_size 312
		.amdhsa_user_sgpr_count 6
		.amdhsa_user_sgpr_private_segment_buffer 1
		.amdhsa_user_sgpr_dispatch_ptr 0
		.amdhsa_user_sgpr_queue_ptr 0
		.amdhsa_user_sgpr_kernarg_segment_ptr 1
		.amdhsa_user_sgpr_dispatch_id 0
		.amdhsa_user_sgpr_flat_scratch_init 0
		.amdhsa_user_sgpr_private_segment_size 0
		.amdhsa_uses_dynamic_stack 0
		.amdhsa_system_sgpr_private_segment_wavefront_offset 0
		.amdhsa_system_sgpr_workgroup_id_x 1
		.amdhsa_system_sgpr_workgroup_id_y 1
		.amdhsa_system_sgpr_workgroup_id_z 0
		.amdhsa_system_sgpr_workgroup_info 0
		.amdhsa_system_vgpr_workitem_id 0
		.amdhsa_next_free_vgpr 18
		.amdhsa_next_free_sgpr 36
		.amdhsa_reserve_vcc 1
		.amdhsa_reserve_flat_scratch 0
		.amdhsa_float_round_mode_32 0
		.amdhsa_float_round_mode_16_64 0
		.amdhsa_float_denorm_mode_32 3
		.amdhsa_float_denorm_mode_16_64 3
		.amdhsa_dx10_clamp 1
		.amdhsa_ieee_mode 1
		.amdhsa_fp16_overflow 0
		.amdhsa_exception_fp_ieee_invalid_op 0
		.amdhsa_exception_fp_denorm_src 0
		.amdhsa_exception_fp_ieee_div_zero 0
		.amdhsa_exception_fp_ieee_overflow 0
		.amdhsa_exception_fp_ieee_underflow 0
		.amdhsa_exception_fp_ieee_inexact 0
		.amdhsa_exception_int_div_zero 0
	.end_amdhsa_kernel
	.section	.text._ZN2at6native28tensor_kernel_scan_outer_dimIN3c107complexIdEEjSt10multipliesIS4_EEEvPT_PKS7_jjjS7_T1_,"axG",@progbits,_ZN2at6native28tensor_kernel_scan_outer_dimIN3c107complexIdEEjSt10multipliesIS4_EEEvPT_PKS7_jjjS7_T1_,comdat
.Lfunc_end70:
	.size	_ZN2at6native28tensor_kernel_scan_outer_dimIN3c107complexIdEEjSt10multipliesIS4_EEEvPT_PKS7_jjjS7_T1_, .Lfunc_end70-_ZN2at6native28tensor_kernel_scan_outer_dimIN3c107complexIdEEjSt10multipliesIS4_EEEvPT_PKS7_jjjS7_T1_
                                        ; -- End function
	.set _ZN2at6native28tensor_kernel_scan_outer_dimIN3c107complexIdEEjSt10multipliesIS4_EEEvPT_PKS7_jjjS7_T1_.num_vgpr, 18
	.set _ZN2at6native28tensor_kernel_scan_outer_dimIN3c107complexIdEEjSt10multipliesIS4_EEEvPT_PKS7_jjjS7_T1_.num_agpr, 0
	.set _ZN2at6native28tensor_kernel_scan_outer_dimIN3c107complexIdEEjSt10multipliesIS4_EEEvPT_PKS7_jjjS7_T1_.numbered_sgpr, 36
	.set _ZN2at6native28tensor_kernel_scan_outer_dimIN3c107complexIdEEjSt10multipliesIS4_EEEvPT_PKS7_jjjS7_T1_.num_named_barrier, 0
	.set _ZN2at6native28tensor_kernel_scan_outer_dimIN3c107complexIdEEjSt10multipliesIS4_EEEvPT_PKS7_jjjS7_T1_.private_seg_size, 0
	.set _ZN2at6native28tensor_kernel_scan_outer_dimIN3c107complexIdEEjSt10multipliesIS4_EEEvPT_PKS7_jjjS7_T1_.uses_vcc, 1
	.set _ZN2at6native28tensor_kernel_scan_outer_dimIN3c107complexIdEEjSt10multipliesIS4_EEEvPT_PKS7_jjjS7_T1_.uses_flat_scratch, 0
	.set _ZN2at6native28tensor_kernel_scan_outer_dimIN3c107complexIdEEjSt10multipliesIS4_EEEvPT_PKS7_jjjS7_T1_.has_dyn_sized_stack, 0
	.set _ZN2at6native28tensor_kernel_scan_outer_dimIN3c107complexIdEEjSt10multipliesIS4_EEEvPT_PKS7_jjjS7_T1_.has_recursion, 0
	.set _ZN2at6native28tensor_kernel_scan_outer_dimIN3c107complexIdEEjSt10multipliesIS4_EEEvPT_PKS7_jjjS7_T1_.has_indirect_call, 0
	.section	.AMDGPU.csdata,"",@progbits
; Kernel info:
; codeLenInByte = 400
; TotalNumSgprs: 40
; NumVgprs: 18
; ScratchSize: 0
; MemoryBound: 0
; FloatMode: 240
; IeeeMode: 1
; LDSByteSize: 0 bytes/workgroup (compile time only)
; SGPRBlocks: 4
; VGPRBlocks: 4
; NumSGPRsForWavesPerEU: 40
; NumVGPRsForWavesPerEU: 18
; Occupancy: 10
; WaveLimiterHint : 0
; COMPUTE_PGM_RSRC2:SCRATCH_EN: 0
; COMPUTE_PGM_RSRC2:USER_SGPR: 6
; COMPUTE_PGM_RSRC2:TRAP_HANDLER: 0
; COMPUTE_PGM_RSRC2:TGID_X_EN: 1
; COMPUTE_PGM_RSRC2:TGID_Y_EN: 1
; COMPUTE_PGM_RSRC2:TGID_Z_EN: 0
; COMPUTE_PGM_RSRC2:TIDIG_COMP_CNT: 0
	.section	.text._ZN2at6native28tensor_kernel_scan_outer_dimIN3c107complexIdEEmSt10multipliesIS4_EEEvPT_PKS7_jjjS7_T1_,"axG",@progbits,_ZN2at6native28tensor_kernel_scan_outer_dimIN3c107complexIdEEmSt10multipliesIS4_EEEvPT_PKS7_jjjS7_T1_,comdat
	.protected	_ZN2at6native28tensor_kernel_scan_outer_dimIN3c107complexIdEEmSt10multipliesIS4_EEEvPT_PKS7_jjjS7_T1_ ; -- Begin function _ZN2at6native28tensor_kernel_scan_outer_dimIN3c107complexIdEEmSt10multipliesIS4_EEEvPT_PKS7_jjjS7_T1_
	.globl	_ZN2at6native28tensor_kernel_scan_outer_dimIN3c107complexIdEEmSt10multipliesIS4_EEEvPT_PKS7_jjjS7_T1_
	.p2align	8
	.type	_ZN2at6native28tensor_kernel_scan_outer_dimIN3c107complexIdEEmSt10multipliesIS4_EEEvPT_PKS7_jjjS7_T1_,@function
_ZN2at6native28tensor_kernel_scan_outer_dimIN3c107complexIdEEmSt10multipliesIS4_EEEvPT_PKS7_jjjS7_T1_: ; @_ZN2at6native28tensor_kernel_scan_outer_dimIN3c107complexIdEEmSt10multipliesIS4_EEEvPT_PKS7_jjjS7_T1_
; %bb.0:
	s_load_dwordx4 s[8:11], s[4:5], 0x10
	s_waitcnt lgkmcnt(0)
	s_cmp_ge_u32 s6, s8
	s_cbranch_scc1 .LBB71_9
; %bb.1:
	s_load_dword s11, s[4:5], 0x38
	s_load_dword s0, s[4:5], 0x44
	s_load_dwordx4 s[12:15], s[4:5], 0x0
	s_load_dwordx4 s[16:19], s[4:5], 0x20
	s_add_u32 s20, s4, 56
	s_addc_u32 s21, s5, 0
	s_waitcnt lgkmcnt(0)
	s_and_b32 s30, s0, 0xffff
	s_cmp_lg_u32 s10, 0
	s_mul_i32 s7, s7, s30
	s_cselect_b64 s[4:5], -1, 0
	v_add_u32_e32 v6, s7, v0
	s_mov_b32 s3, 0
	s_mov_b32 s2, s9
	s_mul_hi_u32 s23, s10, s9
	s_mul_i32 s22, s10, s9
	v_cndmask_b32_e64 v0, 0, 1, s[4:5]
	v_cmp_gt_u32_e64 s[0:1], s9, v6
	s_lshl_b64 s[22:23], s[22:23], 4
	s_lshl_b64 s[24:25], s[2:3], 4
	v_cmp_ne_u32_e64 s[2:3], 1, v0
	v_mov_b32_e32 v5, 0
	s_branch .LBB71_3
.LBB71_2:                               ;   in Loop: Header=BB71_3 Depth=1
	s_or_b64 exec, exec, s[26:27]
	s_add_i32 s6, s6, s11
	s_cmp_ge_u32 s6, s8
	s_cbranch_scc1 .LBB71_9
.LBB71_3:                               ; =>This Loop Header: Depth=1
                                        ;     Child Loop BB71_6 Depth 2
                                        ;       Child Loop BB71_8 Depth 3
	s_and_saveexec_b64 s[26:27], s[0:1]
	s_cbranch_execz .LBB71_2
; %bb.4:                                ;   in Loop: Header=BB71_3 Depth=1
	s_load_dword s7, s[20:21], 0x4
	s_mul_i32 s4, s23, s6
	s_mul_hi_u32 s5, s22, s6
	s_mul_i32 s28, s22, s6
	s_add_i32 s5, s5, s4
	s_add_u32 s31, s28, 8
	s_waitcnt lgkmcnt(0)
	s_mul_i32 s7, s7, s30
	s_addc_u32 s33, s5, 0
	s_mov_b64 s[28:29], 0
	v_mov_b32_e32 v4, v6
	s_branch .LBB71_6
.LBB71_5:                               ;   in Loop: Header=BB71_6 Depth=2
	v_add_u32_e32 v4, s7, v4
	v_cmp_le_u32_e32 vcc, s9, v4
	s_or_b64 s[28:29], vcc, s[28:29]
	s_andn2_b64 exec, exec, s[28:29]
	s_cbranch_execz .LBB71_2
.LBB71_6:                               ;   Parent Loop BB71_3 Depth=1
                                        ; =>  This Loop Header: Depth=2
                                        ;       Child Loop BB71_8 Depth 3
	s_and_b64 vcc, exec, s[2:3]
	s_cbranch_vccnz .LBB71_5
; %bb.7:                                ;   in Loop: Header=BB71_6 Depth=2
	v_lshlrev_b64 v[0:1], 4, v[4:5]
	v_mov_b32_e32 v2, s33
	v_add_co_u32_e32 v7, vcc, s31, v0
	v_addc_co_u32_e32 v8, vcc, v2, v1, vcc
	v_mov_b32_e32 v2, s18
	v_mov_b32_e32 v0, s16
	;; [unrolled: 1-line block ×4, first 2 shown]
	s_mov_b32 s34, s10
.LBB71_8:                               ;   Parent Loop BB71_3 Depth=1
                                        ;     Parent Loop BB71_6 Depth=2
                                        ; =>    This Inner Loop Header: Depth=3
	v_mov_b32_e32 v10, s15
	v_add_co_u32_e32 v9, vcc, s14, v7
	v_addc_co_u32_e32 v10, vcc, v10, v8, vcc
	global_load_dwordx4 v[9:12], v[9:10], off offset:-8
	v_mov_b32_e32 v16, s13
	v_add_co_u32_e32 v15, vcc, s12, v7
	s_add_i32 s34, s34, -1
	v_mov_b32_e32 v17, s25
	v_add_co_u32_e64 v7, s[4:5], s24, v7
	v_addc_co_u32_e32 v16, vcc, v16, v8, vcc
	v_addc_co_u32_e64 v8, vcc, v8, v17, s[4:5]
	s_cmp_eq_u32 s34, 0
	s_waitcnt vmcnt(0)
	v_mul_f64 v[13:14], v[2:3], v[11:12]
	v_mul_f64 v[11:12], v[0:1], v[11:12]
	v_fma_f64 v[0:1], v[0:1], v[9:10], -v[13:14]
	v_fma_f64 v[2:3], v[2:3], v[9:10], v[11:12]
	global_store_dwordx4 v[15:16], v[0:3], off offset:-8
	s_cbranch_scc0 .LBB71_8
	s_branch .LBB71_5
.LBB71_9:
	s_endpgm
	.section	.rodata,"a",@progbits
	.p2align	6, 0x0
	.amdhsa_kernel _ZN2at6native28tensor_kernel_scan_outer_dimIN3c107complexIdEEmSt10multipliesIS4_EEEvPT_PKS7_jjjS7_T1_
		.amdhsa_group_segment_fixed_size 0
		.amdhsa_private_segment_fixed_size 0
		.amdhsa_kernarg_size 312
		.amdhsa_user_sgpr_count 6
		.amdhsa_user_sgpr_private_segment_buffer 1
		.amdhsa_user_sgpr_dispatch_ptr 0
		.amdhsa_user_sgpr_queue_ptr 0
		.amdhsa_user_sgpr_kernarg_segment_ptr 1
		.amdhsa_user_sgpr_dispatch_id 0
		.amdhsa_user_sgpr_flat_scratch_init 0
		.amdhsa_user_sgpr_private_segment_size 0
		.amdhsa_uses_dynamic_stack 0
		.amdhsa_system_sgpr_private_segment_wavefront_offset 0
		.amdhsa_system_sgpr_workgroup_id_x 1
		.amdhsa_system_sgpr_workgroup_id_y 1
		.amdhsa_system_sgpr_workgroup_id_z 0
		.amdhsa_system_sgpr_workgroup_info 0
		.amdhsa_system_vgpr_workitem_id 0
		.amdhsa_next_free_vgpr 18
		.amdhsa_next_free_sgpr 35
		.amdhsa_reserve_vcc 1
		.amdhsa_reserve_flat_scratch 0
		.amdhsa_float_round_mode_32 0
		.amdhsa_float_round_mode_16_64 0
		.amdhsa_float_denorm_mode_32 3
		.amdhsa_float_denorm_mode_16_64 3
		.amdhsa_dx10_clamp 1
		.amdhsa_ieee_mode 1
		.amdhsa_fp16_overflow 0
		.amdhsa_exception_fp_ieee_invalid_op 0
		.amdhsa_exception_fp_denorm_src 0
		.amdhsa_exception_fp_ieee_div_zero 0
		.amdhsa_exception_fp_ieee_overflow 0
		.amdhsa_exception_fp_ieee_underflow 0
		.amdhsa_exception_fp_ieee_inexact 0
		.amdhsa_exception_int_div_zero 0
	.end_amdhsa_kernel
	.section	.text._ZN2at6native28tensor_kernel_scan_outer_dimIN3c107complexIdEEmSt10multipliesIS4_EEEvPT_PKS7_jjjS7_T1_,"axG",@progbits,_ZN2at6native28tensor_kernel_scan_outer_dimIN3c107complexIdEEmSt10multipliesIS4_EEEvPT_PKS7_jjjS7_T1_,comdat
.Lfunc_end71:
	.size	_ZN2at6native28tensor_kernel_scan_outer_dimIN3c107complexIdEEmSt10multipliesIS4_EEEvPT_PKS7_jjjS7_T1_, .Lfunc_end71-_ZN2at6native28tensor_kernel_scan_outer_dimIN3c107complexIdEEmSt10multipliesIS4_EEEvPT_PKS7_jjjS7_T1_
                                        ; -- End function
	.set _ZN2at6native28tensor_kernel_scan_outer_dimIN3c107complexIdEEmSt10multipliesIS4_EEEvPT_PKS7_jjjS7_T1_.num_vgpr, 18
	.set _ZN2at6native28tensor_kernel_scan_outer_dimIN3c107complexIdEEmSt10multipliesIS4_EEEvPT_PKS7_jjjS7_T1_.num_agpr, 0
	.set _ZN2at6native28tensor_kernel_scan_outer_dimIN3c107complexIdEEmSt10multipliesIS4_EEEvPT_PKS7_jjjS7_T1_.numbered_sgpr, 35
	.set _ZN2at6native28tensor_kernel_scan_outer_dimIN3c107complexIdEEmSt10multipliesIS4_EEEvPT_PKS7_jjjS7_T1_.num_named_barrier, 0
	.set _ZN2at6native28tensor_kernel_scan_outer_dimIN3c107complexIdEEmSt10multipliesIS4_EEEvPT_PKS7_jjjS7_T1_.private_seg_size, 0
	.set _ZN2at6native28tensor_kernel_scan_outer_dimIN3c107complexIdEEmSt10multipliesIS4_EEEvPT_PKS7_jjjS7_T1_.uses_vcc, 1
	.set _ZN2at6native28tensor_kernel_scan_outer_dimIN3c107complexIdEEmSt10multipliesIS4_EEEvPT_PKS7_jjjS7_T1_.uses_flat_scratch, 0
	.set _ZN2at6native28tensor_kernel_scan_outer_dimIN3c107complexIdEEmSt10multipliesIS4_EEEvPT_PKS7_jjjS7_T1_.has_dyn_sized_stack, 0
	.set _ZN2at6native28tensor_kernel_scan_outer_dimIN3c107complexIdEEmSt10multipliesIS4_EEEvPT_PKS7_jjjS7_T1_.has_recursion, 0
	.set _ZN2at6native28tensor_kernel_scan_outer_dimIN3c107complexIdEEmSt10multipliesIS4_EEEvPT_PKS7_jjjS7_T1_.has_indirect_call, 0
	.section	.AMDGPU.csdata,"",@progbits
; Kernel info:
; codeLenInByte = 404
; TotalNumSgprs: 39
; NumVgprs: 18
; ScratchSize: 0
; MemoryBound: 0
; FloatMode: 240
; IeeeMode: 1
; LDSByteSize: 0 bytes/workgroup (compile time only)
; SGPRBlocks: 4
; VGPRBlocks: 4
; NumSGPRsForWavesPerEU: 39
; NumVGPRsForWavesPerEU: 18
; Occupancy: 10
; WaveLimiterHint : 0
; COMPUTE_PGM_RSRC2:SCRATCH_EN: 0
; COMPUTE_PGM_RSRC2:USER_SGPR: 6
; COMPUTE_PGM_RSRC2:TRAP_HANDLER: 0
; COMPUTE_PGM_RSRC2:TGID_X_EN: 1
; COMPUTE_PGM_RSRC2:TGID_Y_EN: 1
; COMPUTE_PGM_RSRC2:TGID_Z_EN: 0
; COMPUTE_PGM_RSRC2:TIDIG_COMP_CNT: 0
	.section	.text._ZN7rocprim17ROCPRIM_304000_NS6detail31init_lookback_scan_state_kernelINS1_19lookback_scan_stateIN3c107complexIfEELb1ELb1EEEEEvT_jjPNS8_10value_typeE,"axG",@progbits,_ZN7rocprim17ROCPRIM_304000_NS6detail31init_lookback_scan_state_kernelINS1_19lookback_scan_stateIN3c107complexIfEELb1ELb1EEEEEvT_jjPNS8_10value_typeE,comdat
	.protected	_ZN7rocprim17ROCPRIM_304000_NS6detail31init_lookback_scan_state_kernelINS1_19lookback_scan_stateIN3c107complexIfEELb1ELb1EEEEEvT_jjPNS8_10value_typeE ; -- Begin function _ZN7rocprim17ROCPRIM_304000_NS6detail31init_lookback_scan_state_kernelINS1_19lookback_scan_stateIN3c107complexIfEELb1ELb1EEEEEvT_jjPNS8_10value_typeE
	.globl	_ZN7rocprim17ROCPRIM_304000_NS6detail31init_lookback_scan_state_kernelINS1_19lookback_scan_stateIN3c107complexIfEELb1ELb1EEEEEvT_jjPNS8_10value_typeE
	.p2align	8
	.type	_ZN7rocprim17ROCPRIM_304000_NS6detail31init_lookback_scan_state_kernelINS1_19lookback_scan_stateIN3c107complexIfEELb1ELb1EEEEEvT_jjPNS8_10value_typeE,@function
_ZN7rocprim17ROCPRIM_304000_NS6detail31init_lookback_scan_state_kernelINS1_19lookback_scan_stateIN3c107complexIfEELb1ELb1EEEEEvT_jjPNS8_10value_typeE: ; @_ZN7rocprim17ROCPRIM_304000_NS6detail31init_lookback_scan_state_kernelINS1_19lookback_scan_stateIN3c107complexIfEELb1ELb1EEEEEvT_jjPNS8_10value_typeE
; %bb.0:
	s_load_dword s7, s[4:5], 0x24
	s_load_dwordx2 s[8:9], s[4:5], 0x10
	s_load_dwordx4 s[0:3], s[4:5], 0x0
	s_waitcnt lgkmcnt(0)
	s_and_b32 s4, s7, 0xffff
	s_mul_i32 s6, s6, s4
	s_cmp_eq_u64 s[8:9], 0
	v_add_u32_e32 v0, s6, v0
	s_cbranch_scc1 .LBB72_10
; %bb.1:
	s_cmp_lt_u32 s3, s2
	s_cselect_b32 s4, s3, 0
	s_mov_b32 s7, 0
	v_cmp_eq_u32_e32 vcc, s4, v0
	s_and_saveexec_b64 s[4:5], vcc
	s_cbranch_execz .LBB72_9
; %bb.2:
	s_add_i32 s6, s3, 64
	s_lshl_b64 s[6:7], s[6:7], 4
	s_add_u32 s12, s0, s6
	s_addc_u32 s13, s1, s7
	v_mov_b32_e32 v1, s12
	v_mov_b32_e32 v2, s13
	;;#ASMSTART
	global_load_dwordx4 v[1:4], v[1:2] off glc	
s_waitcnt vmcnt(0)
	;;#ASMEND
	v_and_b32_e32 v4, 0xff, v3
	v_mov_b32_e32 v5, 0
	v_cmp_eq_u64_e32 vcc, 0, v[4:5]
	s_mov_b64 s[10:11], 0
	s_and_saveexec_b64 s[6:7], vcc
	s_cbranch_execz .LBB72_8
; %bb.3:
	v_mov_b32_e32 v6, s12
	s_mov_b32 s3, 1
	v_mov_b32_e32 v7, s13
.LBB72_4:                               ; =>This Loop Header: Depth=1
                                        ;     Child Loop BB72_5 Depth 2
	s_mov_b32 s12, s3
.LBB72_5:                               ;   Parent Loop BB72_4 Depth=1
                                        ; =>  This Inner Loop Header: Depth=2
	s_add_i32 s12, s12, -1
	s_cmp_eq_u32 s12, 0
	s_sleep 1
	s_cbranch_scc0 .LBB72_5
; %bb.6:                                ;   in Loop: Header=BB72_4 Depth=1
	s_cmp_lt_u32 s3, 32
	;;#ASMSTART
	global_load_dwordx4 v[1:4], v[6:7] off glc	
s_waitcnt vmcnt(0)
	;;#ASMEND
	s_cselect_b64 s[12:13], -1, 0
	v_and_b32_e32 v4, 0xff, v3
	s_cmp_lg_u64 s[12:13], 0
	v_cmp_ne_u64_e32 vcc, 0, v[4:5]
	s_addc_u32 s3, s3, 0
	s_or_b64 s[10:11], vcc, s[10:11]
	s_andn2_b64 exec, exec, s[10:11]
	s_cbranch_execnz .LBB72_4
; %bb.7:
	s_or_b64 exec, exec, s[10:11]
.LBB72_8:
	s_or_b64 exec, exec, s[6:7]
	v_mov_b32_e32 v3, 0
	global_store_dwordx2 v3, v[1:2], s[8:9]
.LBB72_9:
	s_or_b64 exec, exec, s[4:5]
.LBB72_10:
	v_cmp_gt_u32_e32 vcc, s2, v0
	s_and_saveexec_b64 s[2:3], vcc
	s_cbranch_execnz .LBB72_13
; %bb.11:
	s_or_b64 exec, exec, s[2:3]
	v_cmp_gt_u32_e32 vcc, 64, v0
	s_and_saveexec_b64 s[2:3], vcc
	s_cbranch_execnz .LBB72_14
.LBB72_12:
	s_endpgm
.LBB72_13:
	v_add_u32_e32 v1, 64, v0
	v_mov_b32_e32 v2, 0
	v_lshlrev_b64 v[3:4], 4, v[1:2]
	v_mov_b32_e32 v1, s1
	v_add_co_u32_e32 v5, vcc, s0, v3
	v_addc_co_u32_e32 v6, vcc, v1, v4, vcc
	v_mov_b32_e32 v1, v2
	v_mov_b32_e32 v3, v2
	;; [unrolled: 1-line block ×3, first 2 shown]
	global_store_dwordx4 v[5:6], v[1:4], off
	s_or_b64 exec, exec, s[2:3]
	v_cmp_gt_u32_e32 vcc, 64, v0
	s_and_saveexec_b64 s[2:3], vcc
	s_cbranch_execz .LBB72_12
.LBB72_14:
	v_mov_b32_e32 v1, 0
	v_lshlrev_b64 v[2:3], 4, v[0:1]
	v_mov_b32_e32 v0, s1
	v_add_co_u32_e32 v4, vcc, s0, v2
	v_addc_co_u32_e32 v5, vcc, v0, v3, vcc
	v_mov_b32_e32 v2, 0xff
	v_mov_b32_e32 v0, v1
	;; [unrolled: 1-line block ×3, first 2 shown]
	global_store_dwordx4 v[4:5], v[0:3], off
	s_endpgm
	.section	.rodata,"a",@progbits
	.p2align	6, 0x0
	.amdhsa_kernel _ZN7rocprim17ROCPRIM_304000_NS6detail31init_lookback_scan_state_kernelINS1_19lookback_scan_stateIN3c107complexIfEELb1ELb1EEEEEvT_jjPNS8_10value_typeE
		.amdhsa_group_segment_fixed_size 0
		.amdhsa_private_segment_fixed_size 0
		.amdhsa_kernarg_size 280
		.amdhsa_user_sgpr_count 6
		.amdhsa_user_sgpr_private_segment_buffer 1
		.amdhsa_user_sgpr_dispatch_ptr 0
		.amdhsa_user_sgpr_queue_ptr 0
		.amdhsa_user_sgpr_kernarg_segment_ptr 1
		.amdhsa_user_sgpr_dispatch_id 0
		.amdhsa_user_sgpr_flat_scratch_init 0
		.amdhsa_user_sgpr_private_segment_size 0
		.amdhsa_uses_dynamic_stack 0
		.amdhsa_system_sgpr_private_segment_wavefront_offset 0
		.amdhsa_system_sgpr_workgroup_id_x 1
		.amdhsa_system_sgpr_workgroup_id_y 0
		.amdhsa_system_sgpr_workgroup_id_z 0
		.amdhsa_system_sgpr_workgroup_info 0
		.amdhsa_system_vgpr_workitem_id 0
		.amdhsa_next_free_vgpr 8
		.amdhsa_next_free_sgpr 14
		.amdhsa_reserve_vcc 1
		.amdhsa_reserve_flat_scratch 0
		.amdhsa_float_round_mode_32 0
		.amdhsa_float_round_mode_16_64 0
		.amdhsa_float_denorm_mode_32 3
		.amdhsa_float_denorm_mode_16_64 3
		.amdhsa_dx10_clamp 1
		.amdhsa_ieee_mode 1
		.amdhsa_fp16_overflow 0
		.amdhsa_exception_fp_ieee_invalid_op 0
		.amdhsa_exception_fp_denorm_src 0
		.amdhsa_exception_fp_ieee_div_zero 0
		.amdhsa_exception_fp_ieee_overflow 0
		.amdhsa_exception_fp_ieee_underflow 0
		.amdhsa_exception_fp_ieee_inexact 0
		.amdhsa_exception_int_div_zero 0
	.end_amdhsa_kernel
	.section	.text._ZN7rocprim17ROCPRIM_304000_NS6detail31init_lookback_scan_state_kernelINS1_19lookback_scan_stateIN3c107complexIfEELb1ELb1EEEEEvT_jjPNS8_10value_typeE,"axG",@progbits,_ZN7rocprim17ROCPRIM_304000_NS6detail31init_lookback_scan_state_kernelINS1_19lookback_scan_stateIN3c107complexIfEELb1ELb1EEEEEvT_jjPNS8_10value_typeE,comdat
.Lfunc_end72:
	.size	_ZN7rocprim17ROCPRIM_304000_NS6detail31init_lookback_scan_state_kernelINS1_19lookback_scan_stateIN3c107complexIfEELb1ELb1EEEEEvT_jjPNS8_10value_typeE, .Lfunc_end72-_ZN7rocprim17ROCPRIM_304000_NS6detail31init_lookback_scan_state_kernelINS1_19lookback_scan_stateIN3c107complexIfEELb1ELb1EEEEEvT_jjPNS8_10value_typeE
                                        ; -- End function
	.set _ZN7rocprim17ROCPRIM_304000_NS6detail31init_lookback_scan_state_kernelINS1_19lookback_scan_stateIN3c107complexIfEELb1ELb1EEEEEvT_jjPNS8_10value_typeE.num_vgpr, 8
	.set _ZN7rocprim17ROCPRIM_304000_NS6detail31init_lookback_scan_state_kernelINS1_19lookback_scan_stateIN3c107complexIfEELb1ELb1EEEEEvT_jjPNS8_10value_typeE.num_agpr, 0
	.set _ZN7rocprim17ROCPRIM_304000_NS6detail31init_lookback_scan_state_kernelINS1_19lookback_scan_stateIN3c107complexIfEELb1ELb1EEEEEvT_jjPNS8_10value_typeE.numbered_sgpr, 14
	.set _ZN7rocprim17ROCPRIM_304000_NS6detail31init_lookback_scan_state_kernelINS1_19lookback_scan_stateIN3c107complexIfEELb1ELb1EEEEEvT_jjPNS8_10value_typeE.num_named_barrier, 0
	.set _ZN7rocprim17ROCPRIM_304000_NS6detail31init_lookback_scan_state_kernelINS1_19lookback_scan_stateIN3c107complexIfEELb1ELb1EEEEEvT_jjPNS8_10value_typeE.private_seg_size, 0
	.set _ZN7rocprim17ROCPRIM_304000_NS6detail31init_lookback_scan_state_kernelINS1_19lookback_scan_stateIN3c107complexIfEELb1ELb1EEEEEvT_jjPNS8_10value_typeE.uses_vcc, 1
	.set _ZN7rocprim17ROCPRIM_304000_NS6detail31init_lookback_scan_state_kernelINS1_19lookback_scan_stateIN3c107complexIfEELb1ELb1EEEEEvT_jjPNS8_10value_typeE.uses_flat_scratch, 0
	.set _ZN7rocprim17ROCPRIM_304000_NS6detail31init_lookback_scan_state_kernelINS1_19lookback_scan_stateIN3c107complexIfEELb1ELb1EEEEEvT_jjPNS8_10value_typeE.has_dyn_sized_stack, 0
	.set _ZN7rocprim17ROCPRIM_304000_NS6detail31init_lookback_scan_state_kernelINS1_19lookback_scan_stateIN3c107complexIfEELb1ELb1EEEEEvT_jjPNS8_10value_typeE.has_recursion, 0
	.set _ZN7rocprim17ROCPRIM_304000_NS6detail31init_lookback_scan_state_kernelINS1_19lookback_scan_stateIN3c107complexIfEELb1ELb1EEEEEvT_jjPNS8_10value_typeE.has_indirect_call, 0
	.section	.AMDGPU.csdata,"",@progbits
; Kernel info:
; codeLenInByte = 404
; TotalNumSgprs: 18
; NumVgprs: 8
; ScratchSize: 0
; MemoryBound: 0
; FloatMode: 240
; IeeeMode: 1
; LDSByteSize: 0 bytes/workgroup (compile time only)
; SGPRBlocks: 2
; VGPRBlocks: 1
; NumSGPRsForWavesPerEU: 18
; NumVGPRsForWavesPerEU: 8
; Occupancy: 10
; WaveLimiterHint : 0
; COMPUTE_PGM_RSRC2:SCRATCH_EN: 0
; COMPUTE_PGM_RSRC2:USER_SGPR: 6
; COMPUTE_PGM_RSRC2:TRAP_HANDLER: 0
; COMPUTE_PGM_RSRC2:TGID_X_EN: 1
; COMPUTE_PGM_RSRC2:TGID_Y_EN: 0
; COMPUTE_PGM_RSRC2:TGID_Z_EN: 0
; COMPUTE_PGM_RSRC2:TIDIG_COMP_CNT: 0
	.section	.text._ZN7rocprim17ROCPRIM_304000_NS6detail31init_lookback_scan_state_kernelINS1_19lookback_scan_stateIN3c107complexIfEELb0ELb1EEEEEvT_jjPNS8_10value_typeE,"axG",@progbits,_ZN7rocprim17ROCPRIM_304000_NS6detail31init_lookback_scan_state_kernelINS1_19lookback_scan_stateIN3c107complexIfEELb0ELb1EEEEEvT_jjPNS8_10value_typeE,comdat
	.protected	_ZN7rocprim17ROCPRIM_304000_NS6detail31init_lookback_scan_state_kernelINS1_19lookback_scan_stateIN3c107complexIfEELb0ELb1EEEEEvT_jjPNS8_10value_typeE ; -- Begin function _ZN7rocprim17ROCPRIM_304000_NS6detail31init_lookback_scan_state_kernelINS1_19lookback_scan_stateIN3c107complexIfEELb0ELb1EEEEEvT_jjPNS8_10value_typeE
	.globl	_ZN7rocprim17ROCPRIM_304000_NS6detail31init_lookback_scan_state_kernelINS1_19lookback_scan_stateIN3c107complexIfEELb0ELb1EEEEEvT_jjPNS8_10value_typeE
	.p2align	8
	.type	_ZN7rocprim17ROCPRIM_304000_NS6detail31init_lookback_scan_state_kernelINS1_19lookback_scan_stateIN3c107complexIfEELb0ELb1EEEEEvT_jjPNS8_10value_typeE,@function
_ZN7rocprim17ROCPRIM_304000_NS6detail31init_lookback_scan_state_kernelINS1_19lookback_scan_stateIN3c107complexIfEELb0ELb1EEEEEvT_jjPNS8_10value_typeE: ; @_ZN7rocprim17ROCPRIM_304000_NS6detail31init_lookback_scan_state_kernelINS1_19lookback_scan_stateIN3c107complexIfEELb0ELb1EEEEEvT_jjPNS8_10value_typeE
; %bb.0:
	s_load_dword s7, s[4:5], 0x24
	s_load_dwordx2 s[8:9], s[4:5], 0x10
	s_load_dwordx4 s[0:3], s[4:5], 0x0
	s_waitcnt lgkmcnt(0)
	s_and_b32 s4, s7, 0xffff
	s_mul_i32 s6, s6, s4
	s_cmp_eq_u64 s[8:9], 0
	v_add_u32_e32 v0, s6, v0
	s_cbranch_scc1 .LBB73_8
; %bb.1:
	s_cmp_lt_u32 s3, s2
	s_cselect_b32 s4, s3, 0
	s_mov_b32 s7, 0
	v_cmp_eq_u32_e32 vcc, s4, v0
	s_and_saveexec_b64 s[4:5], vcc
	s_cbranch_execz .LBB73_7
; %bb.2:
	s_add_i32 s6, s3, 64
	s_lshl_b64 s[6:7], s[6:7], 4
	s_add_u32 s12, s0, s6
	s_addc_u32 s13, s1, s7
	v_mov_b32_e32 v1, s12
	v_mov_b32_e32 v2, s13
	;;#ASMSTART
	global_load_dwordx4 v[1:4], v[1:2] off glc	
s_waitcnt vmcnt(0)
	;;#ASMEND
	v_and_b32_e32 v4, 0xff, v3
	v_mov_b32_e32 v5, 0
	v_cmp_eq_u64_e32 vcc, 0, v[4:5]
	s_mov_b64 s[10:11], 0
	s_and_saveexec_b64 s[6:7], vcc
	s_cbranch_execz .LBB73_6
; %bb.3:
	v_mov_b32_e32 v6, s12
	v_mov_b32_e32 v7, s13
.LBB73_4:                               ; =>This Inner Loop Header: Depth=1
	;;#ASMSTART
	global_load_dwordx4 v[1:4], v[6:7] off glc	
s_waitcnt vmcnt(0)
	;;#ASMEND
	v_and_b32_e32 v4, 0xff, v3
	v_cmp_ne_u64_e32 vcc, 0, v[4:5]
	s_or_b64 s[10:11], vcc, s[10:11]
	s_andn2_b64 exec, exec, s[10:11]
	s_cbranch_execnz .LBB73_4
; %bb.5:
	s_or_b64 exec, exec, s[10:11]
.LBB73_6:
	s_or_b64 exec, exec, s[6:7]
	v_mov_b32_e32 v3, 0
	global_store_dwordx2 v3, v[1:2], s[8:9]
.LBB73_7:
	s_or_b64 exec, exec, s[4:5]
.LBB73_8:
	v_cmp_gt_u32_e32 vcc, s2, v0
	s_and_saveexec_b64 s[2:3], vcc
	s_cbranch_execnz .LBB73_11
; %bb.9:
	s_or_b64 exec, exec, s[2:3]
	v_cmp_gt_u32_e32 vcc, 64, v0
	s_and_saveexec_b64 s[2:3], vcc
	s_cbranch_execnz .LBB73_12
.LBB73_10:
	s_endpgm
.LBB73_11:
	v_add_u32_e32 v1, 64, v0
	v_mov_b32_e32 v2, 0
	v_lshlrev_b64 v[3:4], 4, v[1:2]
	v_mov_b32_e32 v1, s1
	v_add_co_u32_e32 v5, vcc, s0, v3
	v_addc_co_u32_e32 v6, vcc, v1, v4, vcc
	v_mov_b32_e32 v1, v2
	v_mov_b32_e32 v3, v2
	;; [unrolled: 1-line block ×3, first 2 shown]
	global_store_dwordx4 v[5:6], v[1:4], off
	s_or_b64 exec, exec, s[2:3]
	v_cmp_gt_u32_e32 vcc, 64, v0
	s_and_saveexec_b64 s[2:3], vcc
	s_cbranch_execz .LBB73_10
.LBB73_12:
	v_mov_b32_e32 v1, 0
	v_lshlrev_b64 v[2:3], 4, v[0:1]
	v_mov_b32_e32 v0, s1
	v_add_co_u32_e32 v4, vcc, s0, v2
	v_addc_co_u32_e32 v5, vcc, v0, v3, vcc
	v_mov_b32_e32 v2, 0xff
	v_mov_b32_e32 v0, v1
	;; [unrolled: 1-line block ×3, first 2 shown]
	global_store_dwordx4 v[4:5], v[0:3], off
	s_endpgm
	.section	.rodata,"a",@progbits
	.p2align	6, 0x0
	.amdhsa_kernel _ZN7rocprim17ROCPRIM_304000_NS6detail31init_lookback_scan_state_kernelINS1_19lookback_scan_stateIN3c107complexIfEELb0ELb1EEEEEvT_jjPNS8_10value_typeE
		.amdhsa_group_segment_fixed_size 0
		.amdhsa_private_segment_fixed_size 0
		.amdhsa_kernarg_size 280
		.amdhsa_user_sgpr_count 6
		.amdhsa_user_sgpr_private_segment_buffer 1
		.amdhsa_user_sgpr_dispatch_ptr 0
		.amdhsa_user_sgpr_queue_ptr 0
		.amdhsa_user_sgpr_kernarg_segment_ptr 1
		.amdhsa_user_sgpr_dispatch_id 0
		.amdhsa_user_sgpr_flat_scratch_init 0
		.amdhsa_user_sgpr_private_segment_size 0
		.amdhsa_uses_dynamic_stack 0
		.amdhsa_system_sgpr_private_segment_wavefront_offset 0
		.amdhsa_system_sgpr_workgroup_id_x 1
		.amdhsa_system_sgpr_workgroup_id_y 0
		.amdhsa_system_sgpr_workgroup_id_z 0
		.amdhsa_system_sgpr_workgroup_info 0
		.amdhsa_system_vgpr_workitem_id 0
		.amdhsa_next_free_vgpr 8
		.amdhsa_next_free_sgpr 14
		.amdhsa_reserve_vcc 1
		.amdhsa_reserve_flat_scratch 0
		.amdhsa_float_round_mode_32 0
		.amdhsa_float_round_mode_16_64 0
		.amdhsa_float_denorm_mode_32 3
		.amdhsa_float_denorm_mode_16_64 3
		.amdhsa_dx10_clamp 1
		.amdhsa_ieee_mode 1
		.amdhsa_fp16_overflow 0
		.amdhsa_exception_fp_ieee_invalid_op 0
		.amdhsa_exception_fp_denorm_src 0
		.amdhsa_exception_fp_ieee_div_zero 0
		.amdhsa_exception_fp_ieee_overflow 0
		.amdhsa_exception_fp_ieee_underflow 0
		.amdhsa_exception_fp_ieee_inexact 0
		.amdhsa_exception_int_div_zero 0
	.end_amdhsa_kernel
	.section	.text._ZN7rocprim17ROCPRIM_304000_NS6detail31init_lookback_scan_state_kernelINS1_19lookback_scan_stateIN3c107complexIfEELb0ELb1EEEEEvT_jjPNS8_10value_typeE,"axG",@progbits,_ZN7rocprim17ROCPRIM_304000_NS6detail31init_lookback_scan_state_kernelINS1_19lookback_scan_stateIN3c107complexIfEELb0ELb1EEEEEvT_jjPNS8_10value_typeE,comdat
.Lfunc_end73:
	.size	_ZN7rocprim17ROCPRIM_304000_NS6detail31init_lookback_scan_state_kernelINS1_19lookback_scan_stateIN3c107complexIfEELb0ELb1EEEEEvT_jjPNS8_10value_typeE, .Lfunc_end73-_ZN7rocprim17ROCPRIM_304000_NS6detail31init_lookback_scan_state_kernelINS1_19lookback_scan_stateIN3c107complexIfEELb0ELb1EEEEEvT_jjPNS8_10value_typeE
                                        ; -- End function
	.set _ZN7rocprim17ROCPRIM_304000_NS6detail31init_lookback_scan_state_kernelINS1_19lookback_scan_stateIN3c107complexIfEELb0ELb1EEEEEvT_jjPNS8_10value_typeE.num_vgpr, 8
	.set _ZN7rocprim17ROCPRIM_304000_NS6detail31init_lookback_scan_state_kernelINS1_19lookback_scan_stateIN3c107complexIfEELb0ELb1EEEEEvT_jjPNS8_10value_typeE.num_agpr, 0
	.set _ZN7rocprim17ROCPRIM_304000_NS6detail31init_lookback_scan_state_kernelINS1_19lookback_scan_stateIN3c107complexIfEELb0ELb1EEEEEvT_jjPNS8_10value_typeE.numbered_sgpr, 14
	.set _ZN7rocprim17ROCPRIM_304000_NS6detail31init_lookback_scan_state_kernelINS1_19lookback_scan_stateIN3c107complexIfEELb0ELb1EEEEEvT_jjPNS8_10value_typeE.num_named_barrier, 0
	.set _ZN7rocprim17ROCPRIM_304000_NS6detail31init_lookback_scan_state_kernelINS1_19lookback_scan_stateIN3c107complexIfEELb0ELb1EEEEEvT_jjPNS8_10value_typeE.private_seg_size, 0
	.set _ZN7rocprim17ROCPRIM_304000_NS6detail31init_lookback_scan_state_kernelINS1_19lookback_scan_stateIN3c107complexIfEELb0ELb1EEEEEvT_jjPNS8_10value_typeE.uses_vcc, 1
	.set _ZN7rocprim17ROCPRIM_304000_NS6detail31init_lookback_scan_state_kernelINS1_19lookback_scan_stateIN3c107complexIfEELb0ELb1EEEEEvT_jjPNS8_10value_typeE.uses_flat_scratch, 0
	.set _ZN7rocprim17ROCPRIM_304000_NS6detail31init_lookback_scan_state_kernelINS1_19lookback_scan_stateIN3c107complexIfEELb0ELb1EEEEEvT_jjPNS8_10value_typeE.has_dyn_sized_stack, 0
	.set _ZN7rocprim17ROCPRIM_304000_NS6detail31init_lookback_scan_state_kernelINS1_19lookback_scan_stateIN3c107complexIfEELb0ELb1EEEEEvT_jjPNS8_10value_typeE.has_recursion, 0
	.set _ZN7rocprim17ROCPRIM_304000_NS6detail31init_lookback_scan_state_kernelINS1_19lookback_scan_stateIN3c107complexIfEELb0ELb1EEEEEvT_jjPNS8_10value_typeE.has_indirect_call, 0
	.section	.AMDGPU.csdata,"",@progbits
; Kernel info:
; codeLenInByte = 364
; TotalNumSgprs: 18
; NumVgprs: 8
; ScratchSize: 0
; MemoryBound: 0
; FloatMode: 240
; IeeeMode: 1
; LDSByteSize: 0 bytes/workgroup (compile time only)
; SGPRBlocks: 2
; VGPRBlocks: 1
; NumSGPRsForWavesPerEU: 18
; NumVGPRsForWavesPerEU: 8
; Occupancy: 10
; WaveLimiterHint : 0
; COMPUTE_PGM_RSRC2:SCRATCH_EN: 0
; COMPUTE_PGM_RSRC2:USER_SGPR: 6
; COMPUTE_PGM_RSRC2:TRAP_HANDLER: 0
; COMPUTE_PGM_RSRC2:TGID_X_EN: 1
; COMPUTE_PGM_RSRC2:TGID_Y_EN: 0
; COMPUTE_PGM_RSRC2:TGID_Z_EN: 0
; COMPUTE_PGM_RSRC2:TIDIG_COMP_CNT: 0
	.section	.text._ZN7rocprim17ROCPRIM_304000_NS6detail20lookback_scan_kernelILNS1_25lookback_scan_determinismE0ELb0ENS1_19wrapped_scan_configINS0_14default_configEN3c107complexIfEEEEPKS8_PS8_St10multipliesIS8_ES8_S8_NS1_19lookback_scan_stateIS8_Lb1ELb1EEEEEvT2_T3_mT5_T4_T7_jPT6_SN_bb,"axG",@progbits,_ZN7rocprim17ROCPRIM_304000_NS6detail20lookback_scan_kernelILNS1_25lookback_scan_determinismE0ELb0ENS1_19wrapped_scan_configINS0_14default_configEN3c107complexIfEEEEPKS8_PS8_St10multipliesIS8_ES8_S8_NS1_19lookback_scan_stateIS8_Lb1ELb1EEEEEvT2_T3_mT5_T4_T7_jPT6_SN_bb,comdat
	.protected	_ZN7rocprim17ROCPRIM_304000_NS6detail20lookback_scan_kernelILNS1_25lookback_scan_determinismE0ELb0ENS1_19wrapped_scan_configINS0_14default_configEN3c107complexIfEEEEPKS8_PS8_St10multipliesIS8_ES8_S8_NS1_19lookback_scan_stateIS8_Lb1ELb1EEEEEvT2_T3_mT5_T4_T7_jPT6_SN_bb ; -- Begin function _ZN7rocprim17ROCPRIM_304000_NS6detail20lookback_scan_kernelILNS1_25lookback_scan_determinismE0ELb0ENS1_19wrapped_scan_configINS0_14default_configEN3c107complexIfEEEEPKS8_PS8_St10multipliesIS8_ES8_S8_NS1_19lookback_scan_stateIS8_Lb1ELb1EEEEEvT2_T3_mT5_T4_T7_jPT6_SN_bb
	.globl	_ZN7rocprim17ROCPRIM_304000_NS6detail20lookback_scan_kernelILNS1_25lookback_scan_determinismE0ELb0ENS1_19wrapped_scan_configINS0_14default_configEN3c107complexIfEEEEPKS8_PS8_St10multipliesIS8_ES8_S8_NS1_19lookback_scan_stateIS8_Lb1ELb1EEEEEvT2_T3_mT5_T4_T7_jPT6_SN_bb
	.p2align	8
	.type	_ZN7rocprim17ROCPRIM_304000_NS6detail20lookback_scan_kernelILNS1_25lookback_scan_determinismE0ELb0ENS1_19wrapped_scan_configINS0_14default_configEN3c107complexIfEEEEPKS8_PS8_St10multipliesIS8_ES8_S8_NS1_19lookback_scan_stateIS8_Lb1ELb1EEEEEvT2_T3_mT5_T4_T7_jPT6_SN_bb,@function
_ZN7rocprim17ROCPRIM_304000_NS6detail20lookback_scan_kernelILNS1_25lookback_scan_determinismE0ELb0ENS1_19wrapped_scan_configINS0_14default_configEN3c107complexIfEEEEPKS8_PS8_St10multipliesIS8_ES8_S8_NS1_19lookback_scan_stateIS8_Lb1ELb1EEEEEvT2_T3_mT5_T4_T7_jPT6_SN_bb: ; @_ZN7rocprim17ROCPRIM_304000_NS6detail20lookback_scan_kernelILNS1_25lookback_scan_determinismE0ELb0ENS1_19wrapped_scan_configINS0_14default_configEN3c107complexIfEEEEPKS8_PS8_St10multipliesIS8_ES8_S8_NS1_19lookback_scan_stateIS8_Lb1ELb1EEEEEvT2_T3_mT5_T4_T7_jPT6_SN_bb
; %bb.0:
	s_endpgm
	.section	.rodata,"a",@progbits
	.p2align	6, 0x0
	.amdhsa_kernel _ZN7rocprim17ROCPRIM_304000_NS6detail20lookback_scan_kernelILNS1_25lookback_scan_determinismE0ELb0ENS1_19wrapped_scan_configINS0_14default_configEN3c107complexIfEEEEPKS8_PS8_St10multipliesIS8_ES8_S8_NS1_19lookback_scan_stateIS8_Lb1ELb1EEEEEvT2_T3_mT5_T4_T7_jPT6_SN_bb
		.amdhsa_group_segment_fixed_size 0
		.amdhsa_private_segment_fixed_size 0
		.amdhsa_kernarg_size 76
		.amdhsa_user_sgpr_count 6
		.amdhsa_user_sgpr_private_segment_buffer 1
		.amdhsa_user_sgpr_dispatch_ptr 0
		.amdhsa_user_sgpr_queue_ptr 0
		.amdhsa_user_sgpr_kernarg_segment_ptr 1
		.amdhsa_user_sgpr_dispatch_id 0
		.amdhsa_user_sgpr_flat_scratch_init 0
		.amdhsa_user_sgpr_private_segment_size 0
		.amdhsa_uses_dynamic_stack 0
		.amdhsa_system_sgpr_private_segment_wavefront_offset 0
		.amdhsa_system_sgpr_workgroup_id_x 1
		.amdhsa_system_sgpr_workgroup_id_y 0
		.amdhsa_system_sgpr_workgroup_id_z 0
		.amdhsa_system_sgpr_workgroup_info 0
		.amdhsa_system_vgpr_workitem_id 0
		.amdhsa_next_free_vgpr 1
		.amdhsa_next_free_sgpr 0
		.amdhsa_reserve_vcc 0
		.amdhsa_reserve_flat_scratch 0
		.amdhsa_float_round_mode_32 0
		.amdhsa_float_round_mode_16_64 0
		.amdhsa_float_denorm_mode_32 3
		.amdhsa_float_denorm_mode_16_64 3
		.amdhsa_dx10_clamp 1
		.amdhsa_ieee_mode 1
		.amdhsa_fp16_overflow 0
		.amdhsa_exception_fp_ieee_invalid_op 0
		.amdhsa_exception_fp_denorm_src 0
		.amdhsa_exception_fp_ieee_div_zero 0
		.amdhsa_exception_fp_ieee_overflow 0
		.amdhsa_exception_fp_ieee_underflow 0
		.amdhsa_exception_fp_ieee_inexact 0
		.amdhsa_exception_int_div_zero 0
	.end_amdhsa_kernel
	.section	.text._ZN7rocprim17ROCPRIM_304000_NS6detail20lookback_scan_kernelILNS1_25lookback_scan_determinismE0ELb0ENS1_19wrapped_scan_configINS0_14default_configEN3c107complexIfEEEEPKS8_PS8_St10multipliesIS8_ES8_S8_NS1_19lookback_scan_stateIS8_Lb1ELb1EEEEEvT2_T3_mT5_T4_T7_jPT6_SN_bb,"axG",@progbits,_ZN7rocprim17ROCPRIM_304000_NS6detail20lookback_scan_kernelILNS1_25lookback_scan_determinismE0ELb0ENS1_19wrapped_scan_configINS0_14default_configEN3c107complexIfEEEEPKS8_PS8_St10multipliesIS8_ES8_S8_NS1_19lookback_scan_stateIS8_Lb1ELb1EEEEEvT2_T3_mT5_T4_T7_jPT6_SN_bb,comdat
.Lfunc_end74:
	.size	_ZN7rocprim17ROCPRIM_304000_NS6detail20lookback_scan_kernelILNS1_25lookback_scan_determinismE0ELb0ENS1_19wrapped_scan_configINS0_14default_configEN3c107complexIfEEEEPKS8_PS8_St10multipliesIS8_ES8_S8_NS1_19lookback_scan_stateIS8_Lb1ELb1EEEEEvT2_T3_mT5_T4_T7_jPT6_SN_bb, .Lfunc_end74-_ZN7rocprim17ROCPRIM_304000_NS6detail20lookback_scan_kernelILNS1_25lookback_scan_determinismE0ELb0ENS1_19wrapped_scan_configINS0_14default_configEN3c107complexIfEEEEPKS8_PS8_St10multipliesIS8_ES8_S8_NS1_19lookback_scan_stateIS8_Lb1ELb1EEEEEvT2_T3_mT5_T4_T7_jPT6_SN_bb
                                        ; -- End function
	.set _ZN7rocprim17ROCPRIM_304000_NS6detail20lookback_scan_kernelILNS1_25lookback_scan_determinismE0ELb0ENS1_19wrapped_scan_configINS0_14default_configEN3c107complexIfEEEEPKS8_PS8_St10multipliesIS8_ES8_S8_NS1_19lookback_scan_stateIS8_Lb1ELb1EEEEEvT2_T3_mT5_T4_T7_jPT6_SN_bb.num_vgpr, 0
	.set _ZN7rocprim17ROCPRIM_304000_NS6detail20lookback_scan_kernelILNS1_25lookback_scan_determinismE0ELb0ENS1_19wrapped_scan_configINS0_14default_configEN3c107complexIfEEEEPKS8_PS8_St10multipliesIS8_ES8_S8_NS1_19lookback_scan_stateIS8_Lb1ELb1EEEEEvT2_T3_mT5_T4_T7_jPT6_SN_bb.num_agpr, 0
	.set _ZN7rocprim17ROCPRIM_304000_NS6detail20lookback_scan_kernelILNS1_25lookback_scan_determinismE0ELb0ENS1_19wrapped_scan_configINS0_14default_configEN3c107complexIfEEEEPKS8_PS8_St10multipliesIS8_ES8_S8_NS1_19lookback_scan_stateIS8_Lb1ELb1EEEEEvT2_T3_mT5_T4_T7_jPT6_SN_bb.numbered_sgpr, 0
	.set _ZN7rocprim17ROCPRIM_304000_NS6detail20lookback_scan_kernelILNS1_25lookback_scan_determinismE0ELb0ENS1_19wrapped_scan_configINS0_14default_configEN3c107complexIfEEEEPKS8_PS8_St10multipliesIS8_ES8_S8_NS1_19lookback_scan_stateIS8_Lb1ELb1EEEEEvT2_T3_mT5_T4_T7_jPT6_SN_bb.num_named_barrier, 0
	.set _ZN7rocprim17ROCPRIM_304000_NS6detail20lookback_scan_kernelILNS1_25lookback_scan_determinismE0ELb0ENS1_19wrapped_scan_configINS0_14default_configEN3c107complexIfEEEEPKS8_PS8_St10multipliesIS8_ES8_S8_NS1_19lookback_scan_stateIS8_Lb1ELb1EEEEEvT2_T3_mT5_T4_T7_jPT6_SN_bb.private_seg_size, 0
	.set _ZN7rocprim17ROCPRIM_304000_NS6detail20lookback_scan_kernelILNS1_25lookback_scan_determinismE0ELb0ENS1_19wrapped_scan_configINS0_14default_configEN3c107complexIfEEEEPKS8_PS8_St10multipliesIS8_ES8_S8_NS1_19lookback_scan_stateIS8_Lb1ELb1EEEEEvT2_T3_mT5_T4_T7_jPT6_SN_bb.uses_vcc, 0
	.set _ZN7rocprim17ROCPRIM_304000_NS6detail20lookback_scan_kernelILNS1_25lookback_scan_determinismE0ELb0ENS1_19wrapped_scan_configINS0_14default_configEN3c107complexIfEEEEPKS8_PS8_St10multipliesIS8_ES8_S8_NS1_19lookback_scan_stateIS8_Lb1ELb1EEEEEvT2_T3_mT5_T4_T7_jPT6_SN_bb.uses_flat_scratch, 0
	.set _ZN7rocprim17ROCPRIM_304000_NS6detail20lookback_scan_kernelILNS1_25lookback_scan_determinismE0ELb0ENS1_19wrapped_scan_configINS0_14default_configEN3c107complexIfEEEEPKS8_PS8_St10multipliesIS8_ES8_S8_NS1_19lookback_scan_stateIS8_Lb1ELb1EEEEEvT2_T3_mT5_T4_T7_jPT6_SN_bb.has_dyn_sized_stack, 0
	.set _ZN7rocprim17ROCPRIM_304000_NS6detail20lookback_scan_kernelILNS1_25lookback_scan_determinismE0ELb0ENS1_19wrapped_scan_configINS0_14default_configEN3c107complexIfEEEEPKS8_PS8_St10multipliesIS8_ES8_S8_NS1_19lookback_scan_stateIS8_Lb1ELb1EEEEEvT2_T3_mT5_T4_T7_jPT6_SN_bb.has_recursion, 0
	.set _ZN7rocprim17ROCPRIM_304000_NS6detail20lookback_scan_kernelILNS1_25lookback_scan_determinismE0ELb0ENS1_19wrapped_scan_configINS0_14default_configEN3c107complexIfEEEEPKS8_PS8_St10multipliesIS8_ES8_S8_NS1_19lookback_scan_stateIS8_Lb1ELb1EEEEEvT2_T3_mT5_T4_T7_jPT6_SN_bb.has_indirect_call, 0
	.section	.AMDGPU.csdata,"",@progbits
; Kernel info:
; codeLenInByte = 4
; TotalNumSgprs: 4
; NumVgprs: 0
; ScratchSize: 0
; MemoryBound: 0
; FloatMode: 240
; IeeeMode: 1
; LDSByteSize: 0 bytes/workgroup (compile time only)
; SGPRBlocks: 0
; VGPRBlocks: 0
; NumSGPRsForWavesPerEU: 4
; NumVGPRsForWavesPerEU: 1
; Occupancy: 10
; WaveLimiterHint : 0
; COMPUTE_PGM_RSRC2:SCRATCH_EN: 0
; COMPUTE_PGM_RSRC2:USER_SGPR: 6
; COMPUTE_PGM_RSRC2:TRAP_HANDLER: 0
; COMPUTE_PGM_RSRC2:TGID_X_EN: 1
; COMPUTE_PGM_RSRC2:TGID_Y_EN: 0
; COMPUTE_PGM_RSRC2:TGID_Z_EN: 0
; COMPUTE_PGM_RSRC2:TIDIG_COMP_CNT: 0
	.section	.text._ZN7rocprim17ROCPRIM_304000_NS6detail20lookback_scan_kernelILNS1_25lookback_scan_determinismE0ELb0ENS1_19wrapped_scan_configINS0_14default_configEN3c107complexIfEEEEPKS8_PS8_St10multipliesIS8_ES8_S8_NS1_19lookback_scan_stateIS8_Lb0ELb1EEEEEvT2_T3_mT5_T4_T7_jPT6_SN_bb,"axG",@progbits,_ZN7rocprim17ROCPRIM_304000_NS6detail20lookback_scan_kernelILNS1_25lookback_scan_determinismE0ELb0ENS1_19wrapped_scan_configINS0_14default_configEN3c107complexIfEEEEPKS8_PS8_St10multipliesIS8_ES8_S8_NS1_19lookback_scan_stateIS8_Lb0ELb1EEEEEvT2_T3_mT5_T4_T7_jPT6_SN_bb,comdat
	.protected	_ZN7rocprim17ROCPRIM_304000_NS6detail20lookback_scan_kernelILNS1_25lookback_scan_determinismE0ELb0ENS1_19wrapped_scan_configINS0_14default_configEN3c107complexIfEEEEPKS8_PS8_St10multipliesIS8_ES8_S8_NS1_19lookback_scan_stateIS8_Lb0ELb1EEEEEvT2_T3_mT5_T4_T7_jPT6_SN_bb ; -- Begin function _ZN7rocprim17ROCPRIM_304000_NS6detail20lookback_scan_kernelILNS1_25lookback_scan_determinismE0ELb0ENS1_19wrapped_scan_configINS0_14default_configEN3c107complexIfEEEEPKS8_PS8_St10multipliesIS8_ES8_S8_NS1_19lookback_scan_stateIS8_Lb0ELb1EEEEEvT2_T3_mT5_T4_T7_jPT6_SN_bb
	.globl	_ZN7rocprim17ROCPRIM_304000_NS6detail20lookback_scan_kernelILNS1_25lookback_scan_determinismE0ELb0ENS1_19wrapped_scan_configINS0_14default_configEN3c107complexIfEEEEPKS8_PS8_St10multipliesIS8_ES8_S8_NS1_19lookback_scan_stateIS8_Lb0ELb1EEEEEvT2_T3_mT5_T4_T7_jPT6_SN_bb
	.p2align	8
	.type	_ZN7rocprim17ROCPRIM_304000_NS6detail20lookback_scan_kernelILNS1_25lookback_scan_determinismE0ELb0ENS1_19wrapped_scan_configINS0_14default_configEN3c107complexIfEEEEPKS8_PS8_St10multipliesIS8_ES8_S8_NS1_19lookback_scan_stateIS8_Lb0ELb1EEEEEvT2_T3_mT5_T4_T7_jPT6_SN_bb,@function
_ZN7rocprim17ROCPRIM_304000_NS6detail20lookback_scan_kernelILNS1_25lookback_scan_determinismE0ELb0ENS1_19wrapped_scan_configINS0_14default_configEN3c107complexIfEEEEPKS8_PS8_St10multipliesIS8_ES8_S8_NS1_19lookback_scan_stateIS8_Lb0ELb1EEEEEvT2_T3_mT5_T4_T7_jPT6_SN_bb: ; @_ZN7rocprim17ROCPRIM_304000_NS6detail20lookback_scan_kernelILNS1_25lookback_scan_determinismE0ELb0ENS1_19wrapped_scan_configINS0_14default_configEN3c107complexIfEEEEPKS8_PS8_St10multipliesIS8_ES8_S8_NS1_19lookback_scan_stateIS8_Lb0ELb1EEEEEvT2_T3_mT5_T4_T7_jPT6_SN_bb
; %bb.0:
	s_load_dword s7, s[4:5], 0x30
	s_load_dwordx4 s[0:3], s[4:5], 0x0
	s_load_dwordx2 s[8:9], s[4:5], 0x10
	s_mov_b32 s11, 0
	s_mul_i32 s10, s6, 0x380
	s_waitcnt lgkmcnt(0)
	s_add_i32 s7, s7, -1
	s_mul_i32 s12, s7, 0x380
	s_sub_u32 s18, s8, s12
	s_subb_u32 s19, s9, 0
	s_cmp_lg_u32 s6, s7
	s_cselect_b64 s[12:13], -1, 0
	s_lshl_b64 s[14:15], s[10:11], 3
	s_add_u32 s10, s0, s14
	s_addc_u32 s11, s1, s15
	s_mov_b64 s[0:1], -1
	s_and_b64 vcc, exec, s[12:13]
	v_lshlrev_b32_e32 v57, 3, v0
	s_cbranch_vccz .LBB75_2
; %bb.1:
	v_mov_b32_e32 v1, s11
	v_add_co_u32_e32 v17, vcc, s10, v57
	v_addc_co_u32_e32 v18, vcc, 0, v1, vcc
	v_add_co_u32_e32 v17, vcc, 0x1000, v17
	v_addc_co_u32_e32 v18, vcc, 0, v18, vcc
	global_load_dwordx2 v[1:2], v57, s[10:11]
	global_load_dwordx2 v[3:4], v57, s[10:11] offset:512
	global_load_dwordx2 v[5:6], v57, s[10:11] offset:1024
	;; [unrolled: 1-line block ×7, first 2 shown]
	global_load_dwordx2 v[19:20], v[17:18], off
	global_load_dwordx2 v[21:22], v[17:18], off offset:512
	global_load_dwordx2 v[23:24], v[17:18], off offset:1024
	;; [unrolled: 1-line block ×5, first 2 shown]
	s_mov_b64 s[0:1], 0
	s_waitcnt vmcnt(12)
	ds_write2st64_b64 v57, v[1:2], v[3:4] offset1:1
	s_waitcnt vmcnt(10)
	ds_write2st64_b64 v57, v[5:6], v[7:8] offset0:2 offset1:3
	s_waitcnt vmcnt(8)
	ds_write2st64_b64 v57, v[9:10], v[11:12] offset0:4 offset1:5
	;; [unrolled: 2-line block ×6, first 2 shown]
	s_waitcnt lgkmcnt(0)
	; wave barrier
.LBB75_2:
	s_andn2_b64 vcc, exec, s[0:1]
	v_cmp_gt_u32_e64 s[0:1], s18, v0
	s_cbranch_vccnz .LBB75_32
; %bb.3:
	s_load_dwordx2 s[8:9], s[10:11], 0x0
	v_mov_b32_e32 v1, s11
	v_add_co_u32_e32 v3, vcc, s10, v57
	v_addc_co_u32_e32 v4, vcc, 0, v1, vcc
	s_waitcnt lgkmcnt(0)
	v_mov_b32_e32 v2, s9
	v_mov_b32_e32 v1, s8
	s_and_saveexec_b64 s[10:11], s[0:1]
	s_cbranch_execz .LBB75_5
; %bb.4:
	global_load_dwordx2 v[1:2], v[3:4], off
.LBB75_5:
	s_or_b64 exec, exec, s[10:11]
	v_or_b32_e32 v5, 64, v0
	v_cmp_gt_u32_e32 vcc, s18, v5
	v_mov_b32_e32 v6, s9
	v_mov_b32_e32 v5, s8
	s_and_saveexec_b64 s[0:1], vcc
	s_cbranch_execz .LBB75_7
; %bb.6:
	global_load_dwordx2 v[5:6], v[3:4], off offset:512
.LBB75_7:
	s_or_b64 exec, exec, s[0:1]
	v_or_b32_e32 v7, 0x80, v0
	v_cmp_gt_u32_e32 vcc, s18, v7
	v_mov_b32_e32 v8, s9
	v_mov_b32_e32 v7, s8
	s_and_saveexec_b64 s[0:1], vcc
	s_cbranch_execz .LBB75_9
; %bb.8:
	global_load_dwordx2 v[7:8], v[3:4], off offset:1024
.LBB75_9:
	;; [unrolled: 10-line block ×7, first 2 shown]
	s_or_b64 exec, exec, s[0:1]
	v_or_b32_e32 v19, 0x200, v0
	v_cmp_gt_u32_e32 vcc, s18, v19
	v_mov_b32_e32 v20, s9
	v_mov_b32_e32 v19, s8
	s_and_saveexec_b64 s[0:1], vcc
	s_cbranch_execz .LBB75_21
; %bb.20:
	v_add_co_u32_e32 v19, vcc, 0x1000, v3
	v_addc_co_u32_e32 v20, vcc, 0, v4, vcc
	global_load_dwordx2 v[19:20], v[19:20], off
.LBB75_21:
	s_or_b64 exec, exec, s[0:1]
	v_or_b32_e32 v21, 0x240, v0
	v_cmp_gt_u32_e32 vcc, s18, v21
	v_mov_b32_e32 v22, s9
	v_mov_b32_e32 v21, s8
	s_and_saveexec_b64 s[0:1], vcc
	s_cbranch_execz .LBB75_23
; %bb.22:
	v_add_co_u32_e32 v21, vcc, 0x1000, v3
	v_addc_co_u32_e32 v22, vcc, 0, v4, vcc
	global_load_dwordx2 v[21:22], v[21:22], off offset:512
.LBB75_23:
	s_or_b64 exec, exec, s[0:1]
	v_or_b32_e32 v23, 0x280, v0
	v_cmp_gt_u32_e32 vcc, s18, v23
	v_mov_b32_e32 v24, s9
	v_mov_b32_e32 v23, s8
	s_and_saveexec_b64 s[0:1], vcc
	s_cbranch_execz .LBB75_25
; %bb.24:
	v_add_co_u32_e32 v23, vcc, 0x1000, v3
	v_addc_co_u32_e32 v24, vcc, 0, v4, vcc
	global_load_dwordx2 v[23:24], v[23:24], off offset:1024
.LBB75_25:
	s_or_b64 exec, exec, s[0:1]
	v_or_b32_e32 v25, 0x2c0, v0
	v_cmp_gt_u32_e32 vcc, s18, v25
	v_mov_b32_e32 v26, s9
	v_mov_b32_e32 v25, s8
	s_and_saveexec_b64 s[0:1], vcc
	s_cbranch_execz .LBB75_27
; %bb.26:
	v_add_co_u32_e32 v25, vcc, 0x1000, v3
	v_addc_co_u32_e32 v26, vcc, 0, v4, vcc
	global_load_dwordx2 v[25:26], v[25:26], off offset:1536
.LBB75_27:
	s_or_b64 exec, exec, s[0:1]
	v_or_b32_e32 v27, 0x300, v0
	v_cmp_gt_u32_e32 vcc, s18, v27
	v_mov_b32_e32 v28, s9
	v_mov_b32_e32 v27, s8
	s_and_saveexec_b64 s[0:1], vcc
	s_cbranch_execz .LBB75_29
; %bb.28:
	v_add_co_u32_e32 v27, vcc, 0x1000, v3
	v_addc_co_u32_e32 v28, vcc, 0, v4, vcc
	global_load_dwordx2 v[27:28], v[27:28], off offset:2048
.LBB75_29:
	s_or_b64 exec, exec, s[0:1]
	v_or_b32_e32 v29, 0x340, v0
	v_cmp_gt_u32_e32 vcc, s18, v29
	v_mov_b32_e32 v30, s9
	v_mov_b32_e32 v29, s8
	s_and_saveexec_b64 s[0:1], vcc
	s_cbranch_execz .LBB75_31
; %bb.30:
	v_add_co_u32_e32 v3, vcc, 0x1000, v3
	v_addc_co_u32_e32 v4, vcc, 0, v4, vcc
	global_load_dwordx2 v[29:30], v[3:4], off offset:2560
.LBB75_31:
	s_or_b64 exec, exec, s[0:1]
	s_waitcnt vmcnt(0)
	ds_write2st64_b64 v57, v[1:2], v[5:6] offset1:1
	ds_write2st64_b64 v57, v[7:8], v[9:10] offset0:2 offset1:3
	ds_write2st64_b64 v57, v[11:12], v[13:14] offset0:4 offset1:5
	;; [unrolled: 1-line block ×6, first 2 shown]
	s_waitcnt lgkmcnt(0)
	; wave barrier
.LBB75_32:
	v_mul_u32_u24_e32 v58, 0x70, v0
	ds_read_b128 v[1:4], v58 offset:96
	ds_read_b128 v[9:12], v58 offset:80
	;; [unrolled: 1-line block ×3, first 2 shown]
	ds_read_b128 v[5:8], v58
	ds_read_b128 v[25:28], v58 offset:16
	ds_read_b128 v[21:24], v58 offset:32
	;; [unrolled: 1-line block ×3, first 2 shown]
	s_load_dwordx2 s[16:17], s[4:5], 0x28
	s_cmp_lg_u32 s6, 0
	v_mbcnt_lo_u32_b32 v59, -1, 0
	s_waitcnt lgkmcnt(0)
	; wave barrier
	s_cbranch_scc0 .LBB75_84
; %bb.33:
	v_mul_f32_e32 v30, v7, v6
	v_mul_f32_e32 v29, v8, v6
	v_fmac_f32_e32 v30, v8, v5
	v_fma_f32 v29, v7, v5, -v29
	v_mul_f32_e32 v31, v30, v26
	v_fma_f32 v31, v29, v25, -v31
	v_mul_f32_e32 v29, v29, v26
	v_fmac_f32_e32 v29, v30, v25
	v_mul_f32_e32 v30, v29, v28
	v_fma_f32 v30, v31, v27, -v30
	v_mul_f32_e32 v31, v31, v28
	v_fmac_f32_e32 v31, v29, v27
	;; [unrolled: 4-line block ×11, first 2 shown]
	v_mul_f32_e32 v29, v4, v31
	v_fma_f32 v29, v3, v30, -v29
	v_mul_f32_e32 v30, v4, v30
	v_mbcnt_hi_u32_b32 v40, -1, v59
	v_fmac_f32_e32 v30, v3, v31
	v_and_b32_e32 v31, 15, v40
	v_mov_b32_dpp v32, v29 row_shr:1 row_mask:0xf bank_mask:0xf
	v_mov_b32_dpp v33, v30 row_shr:1 row_mask:0xf bank_mask:0xf
	v_cmp_ne_u32_e32 vcc, 0, v31
	s_and_saveexec_b64 s[0:1], vcc
; %bb.34:
	v_mul_f32_e32 v34, v29, v33
	v_fmac_f32_e32 v34, v30, v32
	v_mul_f32_e32 v30, v30, v33
	v_fma_f32 v29, v29, v32, -v30
	v_mov_b32_e32 v30, v34
; %bb.35:
	s_or_b64 exec, exec, s[0:1]
	v_mov_b32_dpp v32, v29 row_shr:2 row_mask:0xf bank_mask:0xf
	v_mov_b32_dpp v33, v30 row_shr:2 row_mask:0xf bank_mask:0xf
	v_cmp_lt_u32_e32 vcc, 1, v31
	s_and_saveexec_b64 s[0:1], vcc
; %bb.36:
	v_mul_f32_e32 v34, v29, v33
	v_fmac_f32_e32 v34, v30, v32
	v_mul_f32_e32 v30, v30, v33
	v_fma_f32 v29, v29, v32, -v30
	v_mov_b32_e32 v30, v34
; %bb.37:
	s_or_b64 exec, exec, s[0:1]
	v_mov_b32_dpp v32, v29 row_shr:4 row_mask:0xf bank_mask:0xf
	v_mov_b32_dpp v33, v30 row_shr:4 row_mask:0xf bank_mask:0xf
	v_cmp_lt_u32_e32 vcc, 3, v31
	;; [unrolled: 12-line block ×3, first 2 shown]
	s_and_saveexec_b64 s[0:1], vcc
; %bb.40:
	v_mul_f32_e32 v31, v29, v33
	v_fmac_f32_e32 v31, v30, v32
	v_mul_f32_e32 v30, v30, v33
	v_fma_f32 v29, v29, v32, -v30
	v_mov_b32_e32 v30, v31
; %bb.41:
	s_or_b64 exec, exec, s[0:1]
	v_and_b32_e32 v33, 16, v40
	v_mov_b32_dpp v31, v29 row_bcast:15 row_mask:0xf bank_mask:0xf
	v_mov_b32_dpp v32, v30 row_bcast:15 row_mask:0xf bank_mask:0xf
	v_cmp_ne_u32_e32 vcc, 0, v33
	s_and_saveexec_b64 s[0:1], vcc
; %bb.42:
	v_mul_f32_e32 v33, v29, v32
	v_fmac_f32_e32 v33, v30, v31
	v_mul_f32_e32 v30, v30, v32
	v_fma_f32 v29, v29, v31, -v30
	v_mov_b32_e32 v30, v33
; %bb.43:
	s_or_b64 exec, exec, s[0:1]
	s_nop 0
	v_mov_b32_dpp v32, v30 row_bcast:31 row_mask:0xf bank_mask:0xf
	v_mov_b32_dpp v31, v29 row_bcast:31 row_mask:0xf bank_mask:0xf
	v_mul_f32_e32 v33, v30, v32
	v_mul_f32_e32 v32, v29, v32
	v_fma_f32 v33, v29, v31, -v33
	v_fmac_f32_e32 v32, v30, v31
	v_cmp_lt_u32_e32 vcc, 31, v40
	v_cndmask_b32_e32 v29, v29, v33, vcc
	v_cndmask_b32_e32 v30, v30, v32, vcc
	v_cmp_eq_u32_e32 vcc, 63, v0
	s_and_saveexec_b64 s[0:1], vcc
; %bb.44:
	v_mov_b32_e32 v31, 0
	ds_write_b64 v31, v[29:30]
; %bb.45:
	s_or_b64 exec, exec, s[0:1]
	v_subrev_co_u32_e64 v31, s[0:1], 1, v40
	v_and_b32_e32 v32, 64, v40
	v_cmp_lt_i32_e32 vcc, v31, v32
	v_cndmask_b32_e32 v31, v31, v40, vcc
	v_lshlrev_b32_e32 v31, 2, v31
	v_mov_b32_e32 v32, 0
	s_waitcnt lgkmcnt(0)
	; wave barrier
	ds_bpermute_b32 v43, v31, v29
	ds_bpermute_b32 v44, v31, v30
	ds_read_b64 v[29:30], v32
	s_and_saveexec_b64 s[8:9], s[0:1]
	s_cbranch_execz .LBB75_47
; %bb.46:
	s_add_i32 s10, s6, 64
	s_mov_b32 s11, 0
	s_lshl_b64 s[10:11], s[10:11], 4
	s_add_u32 s10, s16, s10
	s_addc_u32 s11, s17, s11
	v_mov_b32_e32 v34, s11
	v_mov_b32_e32 v31, 1
	;; [unrolled: 1-line block ×3, first 2 shown]
	s_waitcnt lgkmcnt(0)
	;;#ASMSTART
	global_store_dwordx4 v[33:34], v[29:32] off	
s_waitcnt vmcnt(0)
	;;#ASMEND
.LBB75_47:
	s_or_b64 exec, exec, s[8:9]
	v_xad_u32 v37, v40, -1, s6
	v_add_u32_e32 v31, 64, v37
	v_lshlrev_b64 v[33:34], 4, v[31:32]
	v_mov_b32_e32 v31, s17
	v_add_co_u32_e32 v38, vcc, s16, v33
	v_addc_co_u32_e32 v39, vcc, v31, v34, vcc
	;;#ASMSTART
	global_load_dwordx4 v[33:36], v[38:39] off glc	
s_waitcnt vmcnt(0)
	;;#ASMEND
	v_cmp_eq_u16_sdwa s[10:11], v35, v32 src0_sel:BYTE_0 src1_sel:DWORD
	s_and_saveexec_b64 s[8:9], s[10:11]
	s_cbranch_execz .LBB75_51
; %bb.48:
	s_mov_b64 s[10:11], 0
	v_mov_b32_e32 v31, 0
.LBB75_49:                              ; =>This Inner Loop Header: Depth=1
	;;#ASMSTART
	global_load_dwordx4 v[33:36], v[38:39] off glc	
s_waitcnt vmcnt(0)
	;;#ASMEND
	v_cmp_ne_u16_sdwa s[20:21], v35, v31 src0_sel:BYTE_0 src1_sel:DWORD
	s_or_b64 s[10:11], s[20:21], s[10:11]
	s_andn2_b64 exec, exec, s[10:11]
	s_cbranch_execnz .LBB75_49
; %bb.50:
	s_or_b64 exec, exec, s[10:11]
.LBB75_51:
	s_or_b64 exec, exec, s[8:9]
	v_mov_b32_e32 v36, 2
	v_lshlrev_b64 v[31:32], v40, -1
	v_cmp_eq_u16_sdwa s[8:9], v35, v36 src0_sel:BYTE_0 src1_sel:DWORD
	v_and_b32_e32 v36, s9, v32
	v_or_b32_e32 v36, 0x80000000, v36
	v_and_b32_e32 v38, s8, v31
	v_ffbl_b32_e32 v36, v36
	v_and_b32_e32 v41, 63, v40
	v_add_u32_e32 v36, 32, v36
	v_ffbl_b32_e32 v38, v38
	v_cmp_ne_u32_e32 vcc, 63, v41
	v_min_u32_e32 v36, v38, v36
	v_addc_co_u32_e32 v38, vcc, 0, v40, vcc
	v_lshlrev_b32_e32 v45, 2, v38
	ds_bpermute_b32 v42, v45, v33
	ds_bpermute_b32 v47, v45, v34
	v_add_u32_e32 v46, 1, v40
	v_cmp_le_u32_e32 vcc, v46, v36
	v_mov_b32_e32 v38, v34
	v_mov_b32_e32 v39, v33
	s_and_saveexec_b64 s[8:9], vcc
	s_cbranch_execz .LBB75_53
; %bb.52:
	s_waitcnt lgkmcnt(0)
	v_mul_f32_e32 v38, v34, v47
	v_fma_f32 v39, v33, v42, -v38
	v_mul_f32_e32 v38, v33, v47
	v_fmac_f32_e32 v38, v34, v42
	v_mov_b32_e32 v34, v38
	v_mov_b32_e32 v33, v39
.LBB75_53:
	s_or_b64 exec, exec, s[8:9]
	v_cmp_gt_u32_e32 vcc, 62, v41
	s_waitcnt lgkmcnt(1)
	v_cndmask_b32_e64 v42, 0, 2, vcc
	s_waitcnt lgkmcnt(0)
	v_add_lshl_u32 v47, v42, v40, 2
	ds_bpermute_b32 v42, v47, v33
	ds_bpermute_b32 v49, v47, v34
	v_add_u32_e32 v48, 2, v40
	v_cmp_le_u32_e32 vcc, v48, v36
	s_and_saveexec_b64 s[8:9], vcc
	s_cbranch_execz .LBB75_55
; %bb.54:
	s_waitcnt lgkmcnt(0)
	v_mul_f32_e32 v33, v38, v49
	v_mul_f32_e32 v34, v39, v49
	v_fma_f32 v33, v39, v42, -v33
	v_fmac_f32_e32 v34, v38, v42
	v_mov_b32_e32 v38, v34
	v_mov_b32_e32 v39, v33
.LBB75_55:
	s_or_b64 exec, exec, s[8:9]
	v_cmp_gt_u32_e32 vcc, 60, v41
	s_waitcnt lgkmcnt(1)
	v_cndmask_b32_e64 v42, 0, 4, vcc
	s_waitcnt lgkmcnt(0)
	v_add_lshl_u32 v49, v42, v40, 2
	ds_bpermute_b32 v42, v49, v33
	ds_bpermute_b32 v51, v49, v34
	v_add_u32_e32 v50, 4, v40
	v_cmp_le_u32_e32 vcc, v50, v36
	s_and_saveexec_b64 s[8:9], vcc
	s_cbranch_execz .LBB75_57
; %bb.56:
	s_waitcnt lgkmcnt(0)
	v_mul_f32_e32 v33, v38, v51
	v_mul_f32_e32 v34, v39, v51
	v_fma_f32 v33, v39, v42, -v33
	v_fmac_f32_e32 v34, v38, v42
	v_mov_b32_e32 v38, v34
	v_mov_b32_e32 v39, v33
.LBB75_57:
	;; [unrolled: 21-line block ×3, first 2 shown]
	s_or_b64 exec, exec, s[8:9]
	v_cmp_gt_u32_e32 vcc, 48, v41
	v_cndmask_b32_e64 v41, 0, 16, vcc
	s_waitcnt lgkmcnt(0)
	v_add_lshl_u32 v53, v41, v40, 2
	ds_bpermute_b32 v41, v53, v33
	ds_bpermute_b32 v42, v53, v34
	v_add_u32_e32 v54, 16, v40
	v_cmp_le_u32_e32 vcc, v54, v36
	s_and_saveexec_b64 s[8:9], vcc
	s_cbranch_execz .LBB75_61
; %bb.60:
	s_waitcnt lgkmcnt(0)
	v_mul_f32_e32 v33, v38, v42
	v_mul_f32_e32 v34, v39, v42
	v_fma_f32 v33, v39, v41, -v33
	v_fmac_f32_e32 v34, v38, v41
	v_mov_b32_e32 v38, v34
	v_mov_b32_e32 v39, v33
.LBB75_61:
	s_or_b64 exec, exec, s[8:9]
	s_waitcnt lgkmcnt(1)
	v_mov_b32_e32 v41, 0x80
	v_lshl_or_b32 v55, v40, 2, v41
	ds_bpermute_b32 v34, v55, v34
	ds_bpermute_b32 v33, v55, v33
	v_add_u32_e32 v56, 32, v40
	v_cmp_gt_u32_e32 vcc, v56, v36
	v_mov_b32_e32 v60, 2
	s_waitcnt lgkmcnt(1)
	v_mul_f32_e32 v40, v38, v34
	v_mul_f32_e32 v34, v39, v34
	s_waitcnt lgkmcnt(0)
	v_fma_f32 v40, v39, v33, -v40
	v_fmac_f32_e32 v34, v38, v33
	v_cndmask_b32_e32 v33, v34, v38, vcc
	v_cndmask_b32_e32 v34, v40, v39, vcc
	v_mov_b32_e32 v38, 0
	s_branch .LBB75_64
.LBB75_62:                              ;   in Loop: Header=BB75_64 Depth=1
	s_or_b64 exec, exec, s[8:9]
	ds_bpermute_b32 v34, v55, v34
	ds_bpermute_b32 v33, v55, v33
	v_cmp_gt_u32_e32 vcc, v56, v36
	v_subrev_u32_e32 v37, 64, v37
	s_mov_b64 s[8:9], 0
	s_waitcnt lgkmcnt(1)
	v_mul_f32_e32 v61, v41, v34
	v_mul_f32_e32 v34, v42, v34
	s_waitcnt lgkmcnt(0)
	v_fmac_f32_e32 v34, v41, v33
	v_fma_f32 v61, v42, v33, -v61
	v_cndmask_b32_e32 v33, v34, v41, vcc
	v_cndmask_b32_e32 v36, v61, v42, vcc
	v_mul_f32_e32 v34, v40, v33
	v_mul_f32_e32 v33, v39, v33
	v_fma_f32 v34, v39, v36, -v34
	v_fmac_f32_e32 v33, v40, v36
.LBB75_63:                              ;   in Loop: Header=BB75_64 Depth=1
	s_and_b64 vcc, exec, s[8:9]
	s_cbranch_vccnz .LBB75_79
.LBB75_64:                              ; =>This Loop Header: Depth=1
                                        ;     Child Loop BB75_67 Depth 2
	v_cmp_ne_u16_sdwa s[8:9], v35, v60 src0_sel:BYTE_0 src1_sel:DWORD
	v_mov_b32_e32 v39, v34
	v_mov_b32_e32 v40, v33
	s_cmp_lg_u64 s[8:9], exec
	s_mov_b64 s[8:9], -1
                                        ; implicit-def: $vgpr35
                                        ; implicit-def: $vgpr34
                                        ; implicit-def: $vgpr33
	s_cbranch_scc1 .LBB75_63
; %bb.65:                               ;   in Loop: Header=BB75_64 Depth=1
	v_lshlrev_b64 v[33:34], 4, v[37:38]
	v_mov_b32_e32 v35, s17
	v_add_co_u32_e32 v41, vcc, s16, v33
	v_addc_co_u32_e32 v42, vcc, v35, v34, vcc
	;;#ASMSTART
	global_load_dwordx4 v[33:36], v[41:42] off glc	
s_waitcnt vmcnt(0)
	;;#ASMEND
	v_cmp_eq_u16_sdwa s[10:11], v35, v38 src0_sel:BYTE_0 src1_sel:DWORD
	s_and_saveexec_b64 s[8:9], s[10:11]
	s_cbranch_execz .LBB75_69
; %bb.66:                               ;   in Loop: Header=BB75_64 Depth=1
	s_mov_b64 s[10:11], 0
.LBB75_67:                              ;   Parent Loop BB75_64 Depth=1
                                        ; =>  This Inner Loop Header: Depth=2
	;;#ASMSTART
	global_load_dwordx4 v[33:36], v[41:42] off glc	
s_waitcnt vmcnt(0)
	;;#ASMEND
	v_cmp_ne_u16_sdwa s[20:21], v35, v38 src0_sel:BYTE_0 src1_sel:DWORD
	s_or_b64 s[10:11], s[20:21], s[10:11]
	s_andn2_b64 exec, exec, s[10:11]
	s_cbranch_execnz .LBB75_67
; %bb.68:                               ;   in Loop: Header=BB75_64 Depth=1
	s_or_b64 exec, exec, s[10:11]
.LBB75_69:                              ;   in Loop: Header=BB75_64 Depth=1
	s_or_b64 exec, exec, s[8:9]
	v_cmp_eq_u16_sdwa s[8:9], v35, v60 src0_sel:BYTE_0 src1_sel:DWORD
	v_and_b32_e32 v36, s9, v32
	v_or_b32_e32 v36, 0x80000000, v36
	ds_bpermute_b32 v61, v45, v33
	ds_bpermute_b32 v62, v45, v34
	v_and_b32_e32 v41, s8, v31
	v_ffbl_b32_e32 v36, v36
	v_add_u32_e32 v36, 32, v36
	v_ffbl_b32_e32 v41, v41
	v_min_u32_e32 v36, v41, v36
	v_cmp_le_u32_e32 vcc, v46, v36
	v_mov_b32_e32 v41, v34
	v_mov_b32_e32 v42, v33
	s_and_saveexec_b64 s[8:9], vcc
	s_cbranch_execz .LBB75_71
; %bb.70:                               ;   in Loop: Header=BB75_64 Depth=1
	s_waitcnt lgkmcnt(0)
	v_mul_f32_e32 v41, v34, v62
	v_fma_f32 v42, v33, v61, -v41
	v_mul_f32_e32 v41, v33, v62
	v_fmac_f32_e32 v41, v34, v61
	v_mov_b32_e32 v34, v41
	v_mov_b32_e32 v33, v42
.LBB75_71:                              ;   in Loop: Header=BB75_64 Depth=1
	s_or_b64 exec, exec, s[8:9]
	s_waitcnt lgkmcnt(1)
	ds_bpermute_b32 v61, v47, v33
	s_waitcnt lgkmcnt(1)
	ds_bpermute_b32 v62, v47, v34
	v_cmp_le_u32_e32 vcc, v48, v36
	s_and_saveexec_b64 s[8:9], vcc
	s_cbranch_execz .LBB75_73
; %bb.72:                               ;   in Loop: Header=BB75_64 Depth=1
	s_waitcnt lgkmcnt(0)
	v_mul_f32_e32 v33, v41, v62
	v_mul_f32_e32 v34, v42, v62
	v_fma_f32 v33, v42, v61, -v33
	v_fmac_f32_e32 v34, v41, v61
	v_mov_b32_e32 v41, v34
	v_mov_b32_e32 v42, v33
.LBB75_73:                              ;   in Loop: Header=BB75_64 Depth=1
	s_or_b64 exec, exec, s[8:9]
	s_waitcnt lgkmcnt(1)
	ds_bpermute_b32 v61, v49, v33
	s_waitcnt lgkmcnt(1)
	ds_bpermute_b32 v62, v49, v34
	v_cmp_le_u32_e32 vcc, v50, v36
	s_and_saveexec_b64 s[8:9], vcc
	s_cbranch_execz .LBB75_75
; %bb.74:                               ;   in Loop: Header=BB75_64 Depth=1
	s_waitcnt lgkmcnt(0)
	v_mul_f32_e32 v33, v41, v62
	v_mul_f32_e32 v34, v42, v62
	v_fma_f32 v33, v42, v61, -v33
	v_fmac_f32_e32 v34, v41, v61
	v_mov_b32_e32 v41, v34
	v_mov_b32_e32 v42, v33
.LBB75_75:                              ;   in Loop: Header=BB75_64 Depth=1
	;; [unrolled: 17-line block ×3, first 2 shown]
	s_or_b64 exec, exec, s[8:9]
	s_waitcnt lgkmcnt(1)
	ds_bpermute_b32 v61, v53, v33
	s_waitcnt lgkmcnt(1)
	ds_bpermute_b32 v62, v53, v34
	v_cmp_le_u32_e32 vcc, v54, v36
	s_and_saveexec_b64 s[8:9], vcc
	s_cbranch_execz .LBB75_62
; %bb.78:                               ;   in Loop: Header=BB75_64 Depth=1
	s_waitcnt lgkmcnt(0)
	v_mul_f32_e32 v33, v41, v62
	v_mul_f32_e32 v34, v42, v62
	v_fma_f32 v33, v42, v61, -v33
	v_fmac_f32_e32 v34, v41, v61
	v_mov_b32_e32 v41, v34
	v_mov_b32_e32 v42, v33
	s_branch .LBB75_62
.LBB75_79:
	s_and_saveexec_b64 s[8:9], s[0:1]
	s_cbranch_execz .LBB75_81
; %bb.80:
	s_add_i32 s0, s6, 64
	s_mov_b32 s1, 0
	s_lshl_b64 s[0:1], s[0:1], 4
	s_add_u32 s0, s16, s0
	v_mul_f32_e32 v31, v40, v30
	v_mul_f32_e32 v32, v39, v30
	s_addc_u32 s1, s17, s1
	v_fma_f32 v31, v39, v29, -v31
	v_fmac_f32_e32 v32, v40, v29
	v_mov_b32_e32 v30, s1
	v_mov_b32_e32 v33, 2
	v_mov_b32_e32 v34, 0
	v_mov_b32_e32 v29, s0
	;;#ASMSTART
	global_store_dwordx4 v[29:30], v[31:34] off	
s_waitcnt vmcnt(0)
	;;#ASMEND
.LBB75_81:
	s_or_b64 exec, exec, s[8:9]
	v_cmp_eq_u32_e32 vcc, 0, v0
	s_and_saveexec_b64 s[0:1], vcc
; %bb.82:
	v_mov_b32_e32 v29, 0
	ds_write_b64 v29, v[39:40]
; %bb.83:
	s_or_b64 exec, exec, s[0:1]
	v_mov_b32_e32 v29, 0
	s_waitcnt lgkmcnt(0)
	; wave barrier
	ds_read_b64 v[31:32], v29
	v_mul_f32_e32 v30, v5, v44
	v_mul_f32_e32 v29, v6, v44
	v_fmac_f32_e32 v30, v6, v43
	v_fma_f32 v29, v5, v43, -v29
	v_cndmask_b32_e32 v33, v30, v6, vcc
	v_cndmask_b32_e32 v30, v29, v5, vcc
	s_waitcnt lgkmcnt(0)
	v_mul_f32_e32 v29, v33, v32
	v_fma_f32 v29, v30, v31, -v29
	v_mul_f32_e32 v30, v30, v32
	v_fmac_f32_e32 v30, v33, v31
	v_mul_f32_e32 v32, v30, v7
	v_mul_f32_e32 v31, v30, v8
	v_fmac_f32_e32 v32, v29, v8
	v_fma_f32 v31, v29, v7, -v31
	v_mul_f32_e32 v34, v32, v25
	v_mul_f32_e32 v33, v32, v26
	v_fmac_f32_e32 v34, v31, v26
	v_fma_f32 v33, v31, v25, -v33
	;; [unrolled: 4-line block ×12, first 2 shown]
	v_mul_f32_e32 v55, v4, v54
	v_mul_f32_e32 v56, v3, v54
	v_fma_f32 v55, v3, v53, -v55
	v_fmac_f32_e32 v56, v4, v53
	s_load_dwordx4 s[8:11], s[4:5], 0x38
	s_branch .LBB75_102
.LBB75_84:
                                        ; implicit-def: $vgpr55
                                        ; implicit-def: $vgpr51
                                        ; implicit-def: $vgpr47
                                        ; implicit-def: $vgpr43
                                        ; implicit-def: $vgpr39
                                        ; implicit-def: $vgpr35
                                        ; implicit-def: $vgpr31
	s_load_dwordx4 s[8:11], s[4:5], 0x38
	s_cbranch_execz .LBB75_102
; %bb.85:
	s_load_dword s0, s[4:5], 0x48
	v_cmp_eq_u32_e32 vcc, 0, v0
	s_waitcnt lgkmcnt(0)
	s_bitcmp1_b32 s0, 0
	s_cselect_b64 s[0:1], -1, 0
	s_and_b64 s[6:7], vcc, s[0:1]
	s_and_saveexec_b64 s[0:1], s[6:7]
	s_cbranch_execz .LBB75_87
; %bb.86:
	v_mov_b32_e32 v29, 0
	global_load_dwordx2 v[29:30], v29, s[8:9]
	s_waitcnt vmcnt(0)
	v_mul_f32_e32 v31, v6, v30
	v_mul_f32_e32 v30, v5, v30
	v_fmac_f32_e32 v30, v6, v29
	v_fma_f32 v5, v5, v29, -v31
	v_mov_b32_e32 v6, v30
.LBB75_87:
	s_or_b64 exec, exec, s[0:1]
	v_mul_f32_e32 v30, v8, v5
	v_mul_f32_e32 v29, v8, v6
	v_fmac_f32_e32 v30, v7, v6
	v_fma_f32 v29, v7, v5, -v29
	v_mul_f32_e32 v31, v30, v26
	v_fma_f32 v31, v29, v25, -v31
	v_mul_f32_e32 v29, v29, v26
	v_fmac_f32_e32 v29, v30, v25
	v_mul_f32_e32 v30, v29, v28
	v_fma_f32 v30, v31, v27, -v30
	v_mul_f32_e32 v31, v31, v28
	v_fmac_f32_e32 v31, v29, v27
	v_mul_f32_e32 v29, v31, v22
	v_fma_f32 v29, v30, v21, -v29
	v_mul_f32_e32 v30, v30, v22
	v_fmac_f32_e32 v30, v31, v21
	v_mul_f32_e32 v31, v30, v24
	v_fma_f32 v31, v29, v23, -v31
	v_mul_f32_e32 v29, v29, v24
	v_fmac_f32_e32 v29, v30, v23
	v_mul_f32_e32 v30, v29, v18
	v_fma_f32 v30, v31, v17, -v30
	v_mul_f32_e32 v31, v31, v18
	v_fmac_f32_e32 v31, v29, v17
	v_mul_f32_e32 v29, v31, v20
	v_fma_f32 v29, v30, v19, -v29
	v_mul_f32_e32 v30, v30, v20
	v_fmac_f32_e32 v30, v31, v19
	v_mul_f32_e32 v31, v30, v14
	v_fma_f32 v31, v29, v13, -v31
	v_mul_f32_e32 v29, v29, v14
	v_fmac_f32_e32 v29, v30, v13
	v_mul_f32_e32 v30, v29, v16
	v_fma_f32 v30, v31, v15, -v30
	v_mul_f32_e32 v31, v31, v16
	v_fmac_f32_e32 v31, v29, v15
	v_mul_f32_e32 v29, v31, v10
	v_fma_f32 v29, v30, v9, -v29
	v_mul_f32_e32 v30, v30, v10
	v_fmac_f32_e32 v30, v31, v9
	v_mul_f32_e32 v31, v30, v12
	v_fma_f32 v31, v29, v11, -v31
	v_mul_f32_e32 v29, v29, v12
	v_fmac_f32_e32 v29, v30, v11
	v_mul_f32_e32 v30, v29, v2
	v_fma_f32 v30, v31, v1, -v30
	v_mul_f32_e32 v31, v31, v2
	v_fmac_f32_e32 v31, v29, v1
	v_mul_f32_e32 v29, v4, v31
	v_fma_f32 v29, v3, v30, -v29
	v_mul_f32_e32 v30, v4, v30
	v_fmac_f32_e32 v30, v3, v31
	v_mbcnt_hi_u32_b32 v31, -1, v59
	v_and_b32_e32 v32, 15, v31
	v_mov_b32_dpp v33, v29 row_shr:1 row_mask:0xf bank_mask:0xf
	v_mov_b32_dpp v34, v30 row_shr:1 row_mask:0xf bank_mask:0xf
	v_cmp_ne_u32_e64 s[0:1], 0, v32
	s_and_saveexec_b64 s[6:7], s[0:1]
; %bb.88:
	v_mul_f32_e32 v35, v30, v34
	v_fma_f32 v35, v29, v33, -v35
	v_mul_f32_e32 v29, v29, v34
	v_fmac_f32_e32 v29, v30, v33
	v_mov_b32_e32 v30, v29
	v_mov_b32_e32 v29, v35
; %bb.89:
	s_or_b64 exec, exec, s[6:7]
	s_nop 0
	v_mov_b32_dpp v33, v29 row_shr:2 row_mask:0xf bank_mask:0xf
	v_mov_b32_dpp v34, v30 row_shr:2 row_mask:0xf bank_mask:0xf
	v_cmp_lt_u32_e64 s[0:1], 1, v32
	s_and_saveexec_b64 s[6:7], s[0:1]
; %bb.90:
	v_mul_f32_e32 v35, v29, v34
	v_fmac_f32_e32 v35, v30, v33
	v_mul_f32_e32 v30, v30, v34
	v_fma_f32 v29, v29, v33, -v30
	v_mov_b32_e32 v30, v35
; %bb.91:
	s_or_b64 exec, exec, s[6:7]
	v_mov_b32_dpp v33, v29 row_shr:4 row_mask:0xf bank_mask:0xf
	v_mov_b32_dpp v34, v30 row_shr:4 row_mask:0xf bank_mask:0xf
	v_cmp_lt_u32_e64 s[0:1], 3, v32
	s_and_saveexec_b64 s[6:7], s[0:1]
; %bb.92:
	v_mul_f32_e32 v35, v29, v34
	v_fmac_f32_e32 v35, v30, v33
	v_mul_f32_e32 v30, v30, v34
	v_fma_f32 v29, v29, v33, -v30
	v_mov_b32_e32 v30, v35
; %bb.93:
	s_or_b64 exec, exec, s[6:7]
	;; [unrolled: 12-line block ×3, first 2 shown]
	v_and_b32_e32 v34, 16, v31
	v_mov_b32_dpp v32, v29 row_bcast:15 row_mask:0xf bank_mask:0xf
	v_mov_b32_dpp v33, v30 row_bcast:15 row_mask:0xf bank_mask:0xf
	v_cmp_ne_u32_e64 s[0:1], 0, v34
	s_and_saveexec_b64 s[6:7], s[0:1]
; %bb.96:
	v_mul_f32_e32 v34, v29, v33
	v_fmac_f32_e32 v34, v30, v32
	v_mul_f32_e32 v30, v30, v33
	v_fma_f32 v29, v29, v32, -v30
	v_mov_b32_e32 v30, v34
; %bb.97:
	s_or_b64 exec, exec, s[6:7]
	s_nop 0
	v_mov_b32_dpp v33, v30 row_bcast:31 row_mask:0xf bank_mask:0xf
	v_mov_b32_dpp v32, v29 row_bcast:31 row_mask:0xf bank_mask:0xf
	v_mul_f32_e32 v34, v30, v33
	v_mul_f32_e32 v33, v29, v33
	v_fma_f32 v34, v29, v32, -v34
	v_fmac_f32_e32 v33, v30, v32
	v_cmp_lt_u32_e64 s[0:1], 31, v31
	v_cndmask_b32_e64 v30, v30, v33, s[0:1]
	v_cndmask_b32_e64 v29, v29, v34, s[0:1]
	v_cmp_eq_u32_e64 s[0:1], 63, v0
	s_and_saveexec_b64 s[6:7], s[0:1]
; %bb.98:
	v_mov_b32_e32 v32, 0
	ds_write_b64 v32, v[29:30]
; %bb.99:
	s_or_b64 exec, exec, s[6:7]
	v_add_u32_e32 v32, -1, v31
	v_and_b32_e32 v33, 64, v31
	v_cmp_lt_i32_e64 s[0:1], v32, v33
	v_cndmask_b32_e64 v31, v32, v31, s[0:1]
	v_lshlrev_b32_e32 v31, 2, v31
	ds_bpermute_b32 v30, v31, v30
	ds_bpermute_b32 v31, v31, v29
	s_waitcnt lgkmcnt(0)
	; wave barrier
	v_mul_f32_e32 v29, v6, v30
	v_mul_f32_e32 v30, v5, v30
	v_fmac_f32_e32 v30, v6, v31
	v_fma_f32 v29, v5, v31, -v29
	v_cndmask_b32_e32 v32, v30, v6, vcc
	v_cndmask_b32_e32 v33, v29, v5, vcc
	v_mul_f32_e32 v31, v8, v32
	v_mul_f32_e32 v32, v7, v32
	v_fmac_f32_e32 v32, v8, v33
	v_fma_f32 v31, v7, v33, -v31
	v_mul_f32_e32 v34, v32, v25
	v_mul_f32_e32 v7, v32, v26
	v_fmac_f32_e32 v34, v31, v26
	v_fma_f32 v33, v31, v25, -v7
	;; [unrolled: 4-line block ×12, first 2 shown]
	v_mul_f32_e32 v1, v4, v54
	v_mul_f32_e32 v56, v3, v54
	s_and_saveexec_b64 s[0:1], vcc
	s_cbranch_execz .LBB75_101
; %bb.100:
	s_add_u32 s6, s16, 0x400
	s_addc_u32 s7, s17, 0
	v_mov_b32_e32 v10, 0
	v_mov_b32_e32 v12, s7
	ds_read_b64 v[7:8], v10
	v_mov_b32_e32 v9, 2
	v_mov_b32_e32 v11, s6
	s_waitcnt lgkmcnt(0)
	;;#ASMSTART
	global_store_dwordx4 v[11:12], v[7:10] off	
s_waitcnt vmcnt(0)
	;;#ASMEND
	v_mov_b32_e32 v29, v5
	v_mov_b32_e32 v30, v6
.LBB75_101:
	s_or_b64 exec, exec, s[0:1]
	v_fma_f32 v55, v3, v53, -v1
	v_fmac_f32_e32 v56, v4, v53
.LBB75_102:
	s_add_u32 s0, s2, s14
	s_addc_u32 s1, s3, s15
	s_mov_b64 s[2:3], -1
	s_and_b64 vcc, exec, s[12:13]
	s_waitcnt lgkmcnt(0)
	; wave barrier
	s_cbranch_vccz .LBB75_104
; %bb.103:
	ds_write_b128 v58, v[29:32]
	ds_write_b128 v58, v[33:36] offset:16
	ds_write_b128 v58, v[37:40] offset:32
	;; [unrolled: 1-line block ×6, first 2 shown]
	s_waitcnt lgkmcnt(0)
	; wave barrier
	ds_read2st64_b64 v[1:4], v57 offset1:1
	ds_read2st64_b64 v[5:8], v57 offset0:2 offset1:3
	ds_read2st64_b64 v[9:12], v57 offset0:4 offset1:5
	;; [unrolled: 1-line block ×6, first 2 shown]
	v_mov_b32_e32 v59, s1
	v_add_co_u32_e32 v60, vcc, s0, v57
	v_addc_co_u32_e32 v59, vcc, 0, v59, vcc
	s_waitcnt lgkmcnt(6)
	global_store_dwordx2 v57, v[1:2], s[0:1]
	global_store_dwordx2 v57, v[3:4], s[0:1] offset:512
	s_waitcnt lgkmcnt(5)
	global_store_dwordx2 v57, v[5:6], s[0:1] offset:1024
	global_store_dwordx2 v57, v[7:8], s[0:1] offset:1536
	s_waitcnt lgkmcnt(4)
	global_store_dwordx2 v57, v[9:10], s[0:1] offset:2048
	;; [unrolled: 3-line block ×3, first 2 shown]
	global_store_dwordx2 v57, v[15:16], s[0:1] offset:3584
	v_add_co_u32_e32 v1, vcc, 0x1000, v60
	v_addc_co_u32_e32 v2, vcc, 0, v59, vcc
	s_waitcnt lgkmcnt(2)
	global_store_dwordx2 v[1:2], v[17:18], off
	global_store_dwordx2 v[1:2], v[19:20], off offset:512
	s_waitcnt lgkmcnt(1)
	global_store_dwordx2 v[1:2], v[21:22], off offset:1024
	global_store_dwordx2 v[1:2], v[23:24], off offset:1536
	s_waitcnt lgkmcnt(0)
	global_store_dwordx2 v[1:2], v[25:26], off offset:2048
	global_store_dwordx2 v[1:2], v[27:28], off offset:2560
	s_mov_b64 s[2:3], 0
.LBB75_104:
	s_andn2_b64 vcc, exec, s[2:3]
	s_cbranch_vccnz .LBB75_184
; %bb.105:
	s_movk_i32 s2, 0xff98
	v_mad_i32_i24 v26, v0, s2, v58
	ds_write_b128 v58, v[29:32]
	ds_write_b128 v58, v[33:36] offset:16
	ds_write_b128 v58, v[37:40] offset:32
	;; [unrolled: 1-line block ×6, first 2 shown]
	s_waitcnt lgkmcnt(0)
	; wave barrier
	ds_read2st64_b64 v[6:9], v26 offset1:1
	ds_read2st64_b64 v[10:13], v26 offset0:2 offset1:3
	ds_read2st64_b64 v[14:17], v26 offset0:4 offset1:5
	;; [unrolled: 1-line block ×6, first 2 shown]
	v_mov_b32_e32 v31, s1
	v_add_co_u32_e32 v30, vcc, s0, v57
	v_addc_co_u32_e32 v31, vcc, 0, v31, vcc
	v_mov_b32_e32 v1, 0
	v_cmp_gt_u32_e32 vcc, s18, v0
	s_and_saveexec_b64 s[0:1], vcc
	s_cbranch_execz .LBB75_107
; %bb.106:
	v_mul_i32_i24_e32 v32, 0xffffff98, v0
	v_add_u32_e32 v32, v58, v32
	ds_read_b64 v[32:33], v32
	s_waitcnt lgkmcnt(0)
	global_store_dwordx2 v[30:31], v[32:33], off
.LBB75_107:
	s_or_b64 exec, exec, s[0:1]
	v_or_b32_e32 v32, 64, v0
	v_cmp_gt_u32_e32 vcc, s18, v32
	s_and_saveexec_b64 s[0:1], vcc
	s_cbranch_execz .LBB75_109
; %bb.108:
	s_waitcnt lgkmcnt(6)
	global_store_dwordx2 v[30:31], v[8:9], off offset:512
.LBB75_109:
	s_or_b64 exec, exec, s[0:1]
	v_or_b32_e32 v32, 0x80, v0
	v_cmp_gt_u32_e32 vcc, s18, v32
	s_and_saveexec_b64 s[0:1], vcc
	s_cbranch_execz .LBB75_111
; %bb.110:
	s_waitcnt lgkmcnt(5)
	global_store_dwordx2 v[30:31], v[10:11], off offset:1024
.LBB75_111:
	;; [unrolled: 9-line block ×7, first 2 shown]
	s_or_b64 exec, exec, s[0:1]
	v_or_b32_e32 v32, 0x200, v0
	v_cmp_gt_u32_e32 vcc, s18, v32
	s_and_saveexec_b64 s[0:1], vcc
	s_cbranch_execz .LBB75_123
; %bb.122:
	v_add_co_u32_e32 v32, vcc, 0x1000, v30
	v_addc_co_u32_e32 v33, vcc, 0, v31, vcc
	s_waitcnt lgkmcnt(2)
	global_store_dwordx2 v[32:33], v[22:23], off
.LBB75_123:
	s_or_b64 exec, exec, s[0:1]
	v_or_b32_e32 v32, 0x240, v0
	v_cmp_gt_u32_e32 vcc, s18, v32
	s_and_saveexec_b64 s[0:1], vcc
	s_cbranch_execz .LBB75_125
; %bb.124:
	v_add_co_u32_e32 v32, vcc, 0x1000, v30
	v_addc_co_u32_e32 v33, vcc, 0, v31, vcc
	s_waitcnt lgkmcnt(2)
	global_store_dwordx2 v[32:33], v[24:25], off offset:512
.LBB75_125:
	s_or_b64 exec, exec, s[0:1]
	v_or_b32_e32 v32, 0x280, v0
	v_cmp_gt_u32_e32 vcc, s18, v32
	s_and_saveexec_b64 s[0:1], vcc
	s_cbranch_execz .LBB75_127
; %bb.126:
	v_add_co_u32_e32 v32, vcc, 0x1000, v30
	v_addc_co_u32_e32 v33, vcc, 0, v31, vcc
	s_waitcnt lgkmcnt(1)
	global_store_dwordx2 v[32:33], v[18:19], off offset:1024
.LBB75_127:
	s_or_b64 exec, exec, s[0:1]
	v_or_b32_e32 v32, 0x2c0, v0
	v_cmp_gt_u32_e32 vcc, s18, v32
	s_and_saveexec_b64 s[0:1], vcc
	s_cbranch_execz .LBB75_129
; %bb.128:
	v_add_co_u32_e32 v32, vcc, 0x1000, v30
	v_addc_co_u32_e32 v33, vcc, 0, v31, vcc
	s_waitcnt lgkmcnt(1)
	global_store_dwordx2 v[32:33], v[20:21], off offset:1536
.LBB75_129:
	s_or_b64 exec, exec, s[0:1]
	v_or_b32_e32 v32, 0x300, v0
	v_cmp_gt_u32_e32 vcc, s18, v32
	s_and_saveexec_b64 s[0:1], vcc
	s_cbranch_execz .LBB75_131
; %bb.130:
	v_add_co_u32_e32 v32, vcc, 0x1000, v30
	v_addc_co_u32_e32 v33, vcc, 0, v31, vcc
	s_waitcnt lgkmcnt(0)
	global_store_dwordx2 v[32:33], v[26:27], off offset:2048
.LBB75_131:
	s_or_b64 exec, exec, s[0:1]
	v_or_b32_e32 v32, 0x340, v0
	v_cmp_gt_u32_e32 vcc, s18, v32
	s_and_saveexec_b64 s[0:1], vcc
	s_cbranch_execz .LBB75_133
; %bb.132:
	v_add_co_u32_e32 v30, vcc, 0x1000, v30
	v_addc_co_u32_e32 v31, vcc, 0, v31, vcc
	s_waitcnt lgkmcnt(0)
	global_store_dwordx2 v[30:31], v[28:29], off offset:2560
.LBB75_133:
	s_or_b64 exec, exec, s[0:1]
	s_load_dword s0, s[4:5], 0x48
	s_waitcnt lgkmcnt(0)
	s_bfe_u32 s0, s0, 0x10008
	s_cmp_eq_u32 s0, 0
	s_cbranch_scc1 .LBB75_184
; %bb.134:
	s_add_u32 s0, s18, -1
	s_addc_u32 s1, s19, -1
	s_lshr_b64 s[2:3], s[0:1], 1
	s_lshr_b32 s5, s1, 1
	s_mul_hi_u32 s3, s2, 0x49249249
	s_mul_i32 s4, s2, 0x49249249
	s_mul_i32 s7, s5, 0x24924925
	s_mul_hi_u32 s2, s2, 0x24924925
	s_mul_hi_u32 s6, s5, 0x24924925
	s_add_u32 s2, s7, s2
	s_addc_u32 s6, s6, 0
	s_add_u32 s2, s4, s2
	s_addc_u32 s2, s3, 0
	;; [unrolled: 2-line block ×3, first 2 shown]
	s_mul_hi_u32 s4, s5, 0x49249249
	s_mul_i32 s5, s5, 0x49249249
	s_add_u32 s2, s5, s2
	s_addc_u32 s3, s4, s3
	s_lshr_b64 s[2:3], s[2:3], 1
	v_cmp_eq_u64_e32 vcc, s[2:3], v[0:1]
	s_and_saveexec_b64 s[2:3], vcc
	s_cbranch_execz .LBB75_184
; %bb.135:
	v_mul_hi_u32_u24_e32 v1, 14, v0
	v_mul_u32_u24_e32 v0, 14, v0
	v_mov_b32_e32 v30, s1
	v_sub_co_u32_e32 v0, vcc, s0, v0
	v_subb_co_u32_e32 v1, vcc, v30, v1, vcc
	v_cmp_lt_i64_e32 vcc, 6, v[0:1]
	s_and_saveexec_b64 s[0:1], vcc
	s_xor_b64 s[0:1], exec, s[0:1]
	s_cbranch_execz .LBB75_161
; %bb.136:
	v_cmp_lt_i64_e32 vcc, 9, v[0:1]
	s_and_saveexec_b64 s[2:3], vcc
	s_xor_b64 s[2:3], exec, s[2:3]
	s_cbranch_execz .LBB75_150
; %bb.137:
	v_cmp_lt_i64_e32 vcc, 11, v[0:1]
	s_and_saveexec_b64 s[4:5], vcc
	s_xor_b64 s[4:5], exec, s[4:5]
	s_cbranch_execz .LBB75_143
; %bb.138:
	v_cmp_lt_i64_e32 vcc, 12, v[0:1]
	s_and_saveexec_b64 s[6:7], vcc
	s_xor_b64 s[6:7], exec, s[6:7]
	s_cbranch_execz .LBB75_140
; %bb.139:
	v_mov_b32_e32 v0, 0
	global_store_dwordx2 v0, v[28:29], s[10:11]
                                        ; implicit-def: $vgpr26_vgpr27_vgpr28_vgpr29
.LBB75_140:
	s_andn2_saveexec_b64 s[6:7], s[6:7]
	s_cbranch_execz .LBB75_142
; %bb.141:
	v_mov_b32_e32 v0, 0
	global_store_dwordx2 v0, v[26:27], s[10:11]
.LBB75_142:
	s_or_b64 exec, exec, s[6:7]
                                        ; implicit-def: $vgpr18_vgpr19_vgpr20_vgpr21
                                        ; implicit-def: $vgpr0_vgpr1
.LBB75_143:
	s_andn2_saveexec_b64 s[4:5], s[4:5]
	s_cbranch_execz .LBB75_149
; %bb.144:
	v_cmp_lt_i64_e32 vcc, 10, v[0:1]
	s_and_saveexec_b64 s[6:7], vcc
	s_xor_b64 s[6:7], exec, s[6:7]
	s_cbranch_execz .LBB75_146
; %bb.145:
	v_mov_b32_e32 v0, 0
	global_store_dwordx2 v0, v[20:21], s[10:11]
                                        ; implicit-def: $vgpr18_vgpr19_vgpr20_vgpr21
.LBB75_146:
	s_andn2_saveexec_b64 s[6:7], s[6:7]
	s_cbranch_execz .LBB75_148
; %bb.147:
	v_mov_b32_e32 v0, 0
	global_store_dwordx2 v0, v[18:19], s[10:11]
.LBB75_148:
	s_or_b64 exec, exec, s[6:7]
.LBB75_149:
	s_or_b64 exec, exec, s[4:5]
                                        ; implicit-def: $vgpr2_vgpr3_vgpr4_vgpr5
                                        ; implicit-def: $vgpr0_vgpr1
                                        ; implicit-def: $vgpr22_vgpr23_vgpr24_vgpr25
.LBB75_150:
	s_andn2_saveexec_b64 s[2:3], s[2:3]
	s_cbranch_execz .LBB75_160
; %bb.151:
	v_cmp_lt_i64_e32 vcc, 7, v[0:1]
	s_and_saveexec_b64 s[4:5], vcc
	s_xor_b64 s[4:5], exec, s[4:5]
	s_cbranch_execz .LBB75_157
; %bb.152:
	v_cmp_lt_i64_e32 vcc, 8, v[0:1]
	s_and_saveexec_b64 s[6:7], vcc
	s_xor_b64 s[6:7], exec, s[6:7]
	s_cbranch_execz .LBB75_154
; %bb.153:
	v_mov_b32_e32 v0, 0
	global_store_dwordx2 v0, v[24:25], s[10:11]
                                        ; implicit-def: $vgpr22_vgpr23_vgpr24_vgpr25
.LBB75_154:
	s_andn2_saveexec_b64 s[6:7], s[6:7]
	s_cbranch_execz .LBB75_156
; %bb.155:
	v_mov_b32_e32 v0, 0
	global_store_dwordx2 v0, v[22:23], s[10:11]
.LBB75_156:
	s_or_b64 exec, exec, s[6:7]
                                        ; implicit-def: $vgpr2_vgpr3_vgpr4_vgpr5
.LBB75_157:
	s_andn2_saveexec_b64 s[4:5], s[4:5]
	s_cbranch_execz .LBB75_159
; %bb.158:
	v_mov_b32_e32 v0, 0
	global_store_dwordx2 v0, v[4:5], s[10:11]
.LBB75_159:
	s_or_b64 exec, exec, s[4:5]
.LBB75_160:
	s_or_b64 exec, exec, s[2:3]
                                        ; implicit-def: $vgpr0_vgpr1
                                        ; implicit-def: $vgpr14_vgpr15_vgpr16_vgpr17
                                        ; implicit-def: $vgpr6_vgpr7_vgpr8_vgpr9
                                        ; implicit-def: $vgpr10_vgpr11_vgpr12_vgpr13
                                        ; implicit-def: $vgpr2_vgpr3_vgpr4_vgpr5
.LBB75_161:
	s_andn2_saveexec_b64 s[0:1], s[0:1]
	s_cbranch_execz .LBB75_184
; %bb.162:
	v_cmp_lt_i64_e32 vcc, 3, v[0:1]
	s_and_saveexec_b64 s[0:1], vcc
	s_xor_b64 s[0:1], exec, s[0:1]
	s_cbranch_execz .LBB75_172
; %bb.163:
	v_cmp_lt_i64_e32 vcc, 4, v[0:1]
	s_and_saveexec_b64 s[2:3], vcc
	s_xor_b64 s[2:3], exec, s[2:3]
	;; [unrolled: 5-line block ×3, first 2 shown]
	s_cbranch_execz .LBB75_166
; %bb.165:
	v_mov_b32_e32 v0, 0
	global_store_dwordx2 v0, v[2:3], s[10:11]
                                        ; implicit-def: $vgpr14_vgpr15_vgpr16_vgpr17
.LBB75_166:
	s_andn2_saveexec_b64 s[4:5], s[4:5]
	s_cbranch_execz .LBB75_168
; %bb.167:
	v_mov_b32_e32 v0, 0
	global_store_dwordx2 v0, v[16:17], s[10:11]
.LBB75_168:
	s_or_b64 exec, exec, s[4:5]
                                        ; implicit-def: $vgpr14_vgpr15_vgpr16_vgpr17
.LBB75_169:
	s_andn2_saveexec_b64 s[2:3], s[2:3]
	s_cbranch_execz .LBB75_171
; %bb.170:
	v_mov_b32_e32 v0, 0
	global_store_dwordx2 v0, v[14:15], s[10:11]
.LBB75_171:
	s_or_b64 exec, exec, s[2:3]
                                        ; implicit-def: $vgpr0_vgpr1
                                        ; implicit-def: $vgpr6_vgpr7_vgpr8_vgpr9
                                        ; implicit-def: $vgpr10_vgpr11_vgpr12_vgpr13
.LBB75_172:
	s_andn2_saveexec_b64 s[0:1], s[0:1]
	s_cbranch_execz .LBB75_184
; %bb.173:
	v_cmp_lt_i64_e32 vcc, 1, v[0:1]
	s_and_saveexec_b64 s[0:1], vcc
	s_xor_b64 s[0:1], exec, s[0:1]
	s_cbranch_execz .LBB75_179
; %bb.174:
	v_cmp_lt_i64_e32 vcc, 2, v[0:1]
	s_and_saveexec_b64 s[2:3], vcc
	s_xor_b64 s[2:3], exec, s[2:3]
	s_cbranch_execz .LBB75_176
; %bb.175:
	v_mov_b32_e32 v0, 0
	global_store_dwordx2 v0, v[12:13], s[10:11]
                                        ; implicit-def: $vgpr10_vgpr11_vgpr12_vgpr13
.LBB75_176:
	s_andn2_saveexec_b64 s[2:3], s[2:3]
	s_cbranch_execz .LBB75_178
; %bb.177:
	v_mov_b32_e32 v0, 0
	global_store_dwordx2 v0, v[10:11], s[10:11]
.LBB75_178:
	s_or_b64 exec, exec, s[2:3]
                                        ; implicit-def: $vgpr6_vgpr7_vgpr8_vgpr9
                                        ; implicit-def: $vgpr0_vgpr1
.LBB75_179:
	s_andn2_saveexec_b64 s[0:1], s[0:1]
	s_cbranch_execz .LBB75_184
; %bb.180:
	v_cmp_ne_u64_e32 vcc, 1, v[0:1]
	s_and_saveexec_b64 s[0:1], vcc
	s_xor_b64 s[0:1], exec, s[0:1]
	s_cbranch_execz .LBB75_182
; %bb.181:
	v_mov_b32_e32 v0, 0
	global_store_dwordx2 v0, v[6:7], s[10:11]
                                        ; implicit-def: $vgpr6_vgpr7_vgpr8_vgpr9
.LBB75_182:
	s_andn2_saveexec_b64 s[0:1], s[0:1]
	s_cbranch_execz .LBB75_184
; %bb.183:
	v_mov_b32_e32 v0, 0
	global_store_dwordx2 v0, v[8:9], s[10:11]
.LBB75_184:
	s_endpgm
	.section	.rodata,"a",@progbits
	.p2align	6, 0x0
	.amdhsa_kernel _ZN7rocprim17ROCPRIM_304000_NS6detail20lookback_scan_kernelILNS1_25lookback_scan_determinismE0ELb0ENS1_19wrapped_scan_configINS0_14default_configEN3c107complexIfEEEEPKS8_PS8_St10multipliesIS8_ES8_S8_NS1_19lookback_scan_stateIS8_Lb0ELb1EEEEEvT2_T3_mT5_T4_T7_jPT6_SN_bb
		.amdhsa_group_segment_fixed_size 7168
		.amdhsa_private_segment_fixed_size 0
		.amdhsa_kernarg_size 76
		.amdhsa_user_sgpr_count 6
		.amdhsa_user_sgpr_private_segment_buffer 1
		.amdhsa_user_sgpr_dispatch_ptr 0
		.amdhsa_user_sgpr_queue_ptr 0
		.amdhsa_user_sgpr_kernarg_segment_ptr 1
		.amdhsa_user_sgpr_dispatch_id 0
		.amdhsa_user_sgpr_flat_scratch_init 0
		.amdhsa_user_sgpr_private_segment_size 0
		.amdhsa_uses_dynamic_stack 0
		.amdhsa_system_sgpr_private_segment_wavefront_offset 0
		.amdhsa_system_sgpr_workgroup_id_x 1
		.amdhsa_system_sgpr_workgroup_id_y 0
		.amdhsa_system_sgpr_workgroup_id_z 0
		.amdhsa_system_sgpr_workgroup_info 0
		.amdhsa_system_vgpr_workitem_id 0
		.amdhsa_next_free_vgpr 65
		.amdhsa_next_free_sgpr 98
		.amdhsa_reserve_vcc 1
		.amdhsa_reserve_flat_scratch 0
		.amdhsa_float_round_mode_32 0
		.amdhsa_float_round_mode_16_64 0
		.amdhsa_float_denorm_mode_32 3
		.amdhsa_float_denorm_mode_16_64 3
		.amdhsa_dx10_clamp 1
		.amdhsa_ieee_mode 1
		.amdhsa_fp16_overflow 0
		.amdhsa_exception_fp_ieee_invalid_op 0
		.amdhsa_exception_fp_denorm_src 0
		.amdhsa_exception_fp_ieee_div_zero 0
		.amdhsa_exception_fp_ieee_overflow 0
		.amdhsa_exception_fp_ieee_underflow 0
		.amdhsa_exception_fp_ieee_inexact 0
		.amdhsa_exception_int_div_zero 0
	.end_amdhsa_kernel
	.section	.text._ZN7rocprim17ROCPRIM_304000_NS6detail20lookback_scan_kernelILNS1_25lookback_scan_determinismE0ELb0ENS1_19wrapped_scan_configINS0_14default_configEN3c107complexIfEEEEPKS8_PS8_St10multipliesIS8_ES8_S8_NS1_19lookback_scan_stateIS8_Lb0ELb1EEEEEvT2_T3_mT5_T4_T7_jPT6_SN_bb,"axG",@progbits,_ZN7rocprim17ROCPRIM_304000_NS6detail20lookback_scan_kernelILNS1_25lookback_scan_determinismE0ELb0ENS1_19wrapped_scan_configINS0_14default_configEN3c107complexIfEEEEPKS8_PS8_St10multipliesIS8_ES8_S8_NS1_19lookback_scan_stateIS8_Lb0ELb1EEEEEvT2_T3_mT5_T4_T7_jPT6_SN_bb,comdat
.Lfunc_end75:
	.size	_ZN7rocprim17ROCPRIM_304000_NS6detail20lookback_scan_kernelILNS1_25lookback_scan_determinismE0ELb0ENS1_19wrapped_scan_configINS0_14default_configEN3c107complexIfEEEEPKS8_PS8_St10multipliesIS8_ES8_S8_NS1_19lookback_scan_stateIS8_Lb0ELb1EEEEEvT2_T3_mT5_T4_T7_jPT6_SN_bb, .Lfunc_end75-_ZN7rocprim17ROCPRIM_304000_NS6detail20lookback_scan_kernelILNS1_25lookback_scan_determinismE0ELb0ENS1_19wrapped_scan_configINS0_14default_configEN3c107complexIfEEEEPKS8_PS8_St10multipliesIS8_ES8_S8_NS1_19lookback_scan_stateIS8_Lb0ELb1EEEEEvT2_T3_mT5_T4_T7_jPT6_SN_bb
                                        ; -- End function
	.set _ZN7rocprim17ROCPRIM_304000_NS6detail20lookback_scan_kernelILNS1_25lookback_scan_determinismE0ELb0ENS1_19wrapped_scan_configINS0_14default_configEN3c107complexIfEEEEPKS8_PS8_St10multipliesIS8_ES8_S8_NS1_19lookback_scan_stateIS8_Lb0ELb1EEEEEvT2_T3_mT5_T4_T7_jPT6_SN_bb.num_vgpr, 63
	.set _ZN7rocprim17ROCPRIM_304000_NS6detail20lookback_scan_kernelILNS1_25lookback_scan_determinismE0ELb0ENS1_19wrapped_scan_configINS0_14default_configEN3c107complexIfEEEEPKS8_PS8_St10multipliesIS8_ES8_S8_NS1_19lookback_scan_stateIS8_Lb0ELb1EEEEEvT2_T3_mT5_T4_T7_jPT6_SN_bb.num_agpr, 0
	.set _ZN7rocprim17ROCPRIM_304000_NS6detail20lookback_scan_kernelILNS1_25lookback_scan_determinismE0ELb0ENS1_19wrapped_scan_configINS0_14default_configEN3c107complexIfEEEEPKS8_PS8_St10multipliesIS8_ES8_S8_NS1_19lookback_scan_stateIS8_Lb0ELb1EEEEEvT2_T3_mT5_T4_T7_jPT6_SN_bb.numbered_sgpr, 22
	.set _ZN7rocprim17ROCPRIM_304000_NS6detail20lookback_scan_kernelILNS1_25lookback_scan_determinismE0ELb0ENS1_19wrapped_scan_configINS0_14default_configEN3c107complexIfEEEEPKS8_PS8_St10multipliesIS8_ES8_S8_NS1_19lookback_scan_stateIS8_Lb0ELb1EEEEEvT2_T3_mT5_T4_T7_jPT6_SN_bb.num_named_barrier, 0
	.set _ZN7rocprim17ROCPRIM_304000_NS6detail20lookback_scan_kernelILNS1_25lookback_scan_determinismE0ELb0ENS1_19wrapped_scan_configINS0_14default_configEN3c107complexIfEEEEPKS8_PS8_St10multipliesIS8_ES8_S8_NS1_19lookback_scan_stateIS8_Lb0ELb1EEEEEvT2_T3_mT5_T4_T7_jPT6_SN_bb.private_seg_size, 0
	.set _ZN7rocprim17ROCPRIM_304000_NS6detail20lookback_scan_kernelILNS1_25lookback_scan_determinismE0ELb0ENS1_19wrapped_scan_configINS0_14default_configEN3c107complexIfEEEEPKS8_PS8_St10multipliesIS8_ES8_S8_NS1_19lookback_scan_stateIS8_Lb0ELb1EEEEEvT2_T3_mT5_T4_T7_jPT6_SN_bb.uses_vcc, 1
	.set _ZN7rocprim17ROCPRIM_304000_NS6detail20lookback_scan_kernelILNS1_25lookback_scan_determinismE0ELb0ENS1_19wrapped_scan_configINS0_14default_configEN3c107complexIfEEEEPKS8_PS8_St10multipliesIS8_ES8_S8_NS1_19lookback_scan_stateIS8_Lb0ELb1EEEEEvT2_T3_mT5_T4_T7_jPT6_SN_bb.uses_flat_scratch, 0
	.set _ZN7rocprim17ROCPRIM_304000_NS6detail20lookback_scan_kernelILNS1_25lookback_scan_determinismE0ELb0ENS1_19wrapped_scan_configINS0_14default_configEN3c107complexIfEEEEPKS8_PS8_St10multipliesIS8_ES8_S8_NS1_19lookback_scan_stateIS8_Lb0ELb1EEEEEvT2_T3_mT5_T4_T7_jPT6_SN_bb.has_dyn_sized_stack, 0
	.set _ZN7rocprim17ROCPRIM_304000_NS6detail20lookback_scan_kernelILNS1_25lookback_scan_determinismE0ELb0ENS1_19wrapped_scan_configINS0_14default_configEN3c107complexIfEEEEPKS8_PS8_St10multipliesIS8_ES8_S8_NS1_19lookback_scan_stateIS8_Lb0ELb1EEEEEvT2_T3_mT5_T4_T7_jPT6_SN_bb.has_recursion, 0
	.set _ZN7rocprim17ROCPRIM_304000_NS6detail20lookback_scan_kernelILNS1_25lookback_scan_determinismE0ELb0ENS1_19wrapped_scan_configINS0_14default_configEN3c107complexIfEEEEPKS8_PS8_St10multipliesIS8_ES8_S8_NS1_19lookback_scan_stateIS8_Lb0ELb1EEEEEvT2_T3_mT5_T4_T7_jPT6_SN_bb.has_indirect_call, 0
	.section	.AMDGPU.csdata,"",@progbits
; Kernel info:
; codeLenInByte = 6564
; TotalNumSgprs: 26
; NumVgprs: 63
; ScratchSize: 0
; MemoryBound: 0
; FloatMode: 240
; IeeeMode: 1
; LDSByteSize: 7168 bytes/workgroup (compile time only)
; SGPRBlocks: 12
; VGPRBlocks: 16
; NumSGPRsForWavesPerEU: 102
; NumVGPRsForWavesPerEU: 65
; Occupancy: 3
; WaveLimiterHint : 1
; COMPUTE_PGM_RSRC2:SCRATCH_EN: 0
; COMPUTE_PGM_RSRC2:USER_SGPR: 6
; COMPUTE_PGM_RSRC2:TRAP_HANDLER: 0
; COMPUTE_PGM_RSRC2:TGID_X_EN: 1
; COMPUTE_PGM_RSRC2:TGID_Y_EN: 0
; COMPUTE_PGM_RSRC2:TGID_Z_EN: 0
; COMPUTE_PGM_RSRC2:TIDIG_COMP_CNT: 0
	.section	.text._ZN7rocprim17ROCPRIM_304000_NS6detail16transform_kernelINS1_24wrapped_transform_configINS0_14default_configEN3c107complexIfEEEES7_PS7_S9_NS0_8identityIS7_EEEEvT1_mT2_T3_,"axG",@progbits,_ZN7rocprim17ROCPRIM_304000_NS6detail16transform_kernelINS1_24wrapped_transform_configINS0_14default_configEN3c107complexIfEEEES7_PS7_S9_NS0_8identityIS7_EEEEvT1_mT2_T3_,comdat
	.protected	_ZN7rocprim17ROCPRIM_304000_NS6detail16transform_kernelINS1_24wrapped_transform_configINS0_14default_configEN3c107complexIfEEEES7_PS7_S9_NS0_8identityIS7_EEEEvT1_mT2_T3_ ; -- Begin function _ZN7rocprim17ROCPRIM_304000_NS6detail16transform_kernelINS1_24wrapped_transform_configINS0_14default_configEN3c107complexIfEEEES7_PS7_S9_NS0_8identityIS7_EEEEvT1_mT2_T3_
	.globl	_ZN7rocprim17ROCPRIM_304000_NS6detail16transform_kernelINS1_24wrapped_transform_configINS0_14default_configEN3c107complexIfEEEES7_PS7_S9_NS0_8identityIS7_EEEEvT1_mT2_T3_
	.p2align	8
	.type	_ZN7rocprim17ROCPRIM_304000_NS6detail16transform_kernelINS1_24wrapped_transform_configINS0_14default_configEN3c107complexIfEEEES7_PS7_S9_NS0_8identityIS7_EEEEvT1_mT2_T3_,@function
_ZN7rocprim17ROCPRIM_304000_NS6detail16transform_kernelINS1_24wrapped_transform_configINS0_14default_configEN3c107complexIfEEEES7_PS7_S9_NS0_8identityIS7_EEEEvT1_mT2_T3_: ; @_ZN7rocprim17ROCPRIM_304000_NS6detail16transform_kernelINS1_24wrapped_transform_configINS0_14default_configEN3c107complexIfEEEES7_PS7_S9_NS0_8identityIS7_EEEEvT1_mT2_T3_
; %bb.0:
	s_load_dword s7, s[4:5], 0x20
	s_load_dwordx4 s[0:3], s[4:5], 0x0
	s_lshl_b32 s8, s6, 9
	s_waitcnt lgkmcnt(0)
	s_add_i32 s7, s7, -1
	s_cmp_lg_u32 s6, s7
	s_cselect_b64 s[6:7], -1, 0
	s_sub_i32 s2, s2, s8
	v_cmp_gt_u32_e32 vcc, s2, v0
	s_or_b64 s[2:3], vcc, s[6:7]
	s_and_saveexec_b64 s[6:7], s[2:3]
	s_cbranch_execz .LBB76_2
; %bb.1:
	s_load_dwordx2 s[2:3], s[4:5], 0x10
	s_mov_b32 s9, 0
	s_lshl_b64 s[4:5], s[8:9], 3
	v_lshlrev_b32_e32 v2, 3, v0
	s_waitcnt lgkmcnt(0)
	s_add_u32 s2, s2, s4
	s_addc_u32 s3, s3, s5
	s_add_u32 s0, s0, s4
	s_addc_u32 s1, s1, s5
	global_load_dwordx2 v[0:1], v2, s[0:1]
	s_waitcnt vmcnt(0)
	global_store_dwordx2 v2, v[0:1], s[2:3]
.LBB76_2:
	s_endpgm
	.section	.rodata,"a",@progbits
	.p2align	6, 0x0
	.amdhsa_kernel _ZN7rocprim17ROCPRIM_304000_NS6detail16transform_kernelINS1_24wrapped_transform_configINS0_14default_configEN3c107complexIfEEEES7_PS7_S9_NS0_8identityIS7_EEEEvT1_mT2_T3_
		.amdhsa_group_segment_fixed_size 0
		.amdhsa_private_segment_fixed_size 0
		.amdhsa_kernarg_size 288
		.amdhsa_user_sgpr_count 6
		.amdhsa_user_sgpr_private_segment_buffer 1
		.amdhsa_user_sgpr_dispatch_ptr 0
		.amdhsa_user_sgpr_queue_ptr 0
		.amdhsa_user_sgpr_kernarg_segment_ptr 1
		.amdhsa_user_sgpr_dispatch_id 0
		.amdhsa_user_sgpr_flat_scratch_init 0
		.amdhsa_user_sgpr_private_segment_size 0
		.amdhsa_uses_dynamic_stack 0
		.amdhsa_system_sgpr_private_segment_wavefront_offset 0
		.amdhsa_system_sgpr_workgroup_id_x 1
		.amdhsa_system_sgpr_workgroup_id_y 0
		.amdhsa_system_sgpr_workgroup_id_z 0
		.amdhsa_system_sgpr_workgroup_info 0
		.amdhsa_system_vgpr_workitem_id 0
		.amdhsa_next_free_vgpr 3
		.amdhsa_next_free_sgpr 10
		.amdhsa_reserve_vcc 1
		.amdhsa_reserve_flat_scratch 0
		.amdhsa_float_round_mode_32 0
		.amdhsa_float_round_mode_16_64 0
		.amdhsa_float_denorm_mode_32 3
		.amdhsa_float_denorm_mode_16_64 3
		.amdhsa_dx10_clamp 1
		.amdhsa_ieee_mode 1
		.amdhsa_fp16_overflow 0
		.amdhsa_exception_fp_ieee_invalid_op 0
		.amdhsa_exception_fp_denorm_src 0
		.amdhsa_exception_fp_ieee_div_zero 0
		.amdhsa_exception_fp_ieee_overflow 0
		.amdhsa_exception_fp_ieee_underflow 0
		.amdhsa_exception_fp_ieee_inexact 0
		.amdhsa_exception_int_div_zero 0
	.end_amdhsa_kernel
	.section	.text._ZN7rocprim17ROCPRIM_304000_NS6detail16transform_kernelINS1_24wrapped_transform_configINS0_14default_configEN3c107complexIfEEEES7_PS7_S9_NS0_8identityIS7_EEEEvT1_mT2_T3_,"axG",@progbits,_ZN7rocprim17ROCPRIM_304000_NS6detail16transform_kernelINS1_24wrapped_transform_configINS0_14default_configEN3c107complexIfEEEES7_PS7_S9_NS0_8identityIS7_EEEEvT1_mT2_T3_,comdat
.Lfunc_end76:
	.size	_ZN7rocprim17ROCPRIM_304000_NS6detail16transform_kernelINS1_24wrapped_transform_configINS0_14default_configEN3c107complexIfEEEES7_PS7_S9_NS0_8identityIS7_EEEEvT1_mT2_T3_, .Lfunc_end76-_ZN7rocprim17ROCPRIM_304000_NS6detail16transform_kernelINS1_24wrapped_transform_configINS0_14default_configEN3c107complexIfEEEES7_PS7_S9_NS0_8identityIS7_EEEEvT1_mT2_T3_
                                        ; -- End function
	.set _ZN7rocprim17ROCPRIM_304000_NS6detail16transform_kernelINS1_24wrapped_transform_configINS0_14default_configEN3c107complexIfEEEES7_PS7_S9_NS0_8identityIS7_EEEEvT1_mT2_T3_.num_vgpr, 3
	.set _ZN7rocprim17ROCPRIM_304000_NS6detail16transform_kernelINS1_24wrapped_transform_configINS0_14default_configEN3c107complexIfEEEES7_PS7_S9_NS0_8identityIS7_EEEEvT1_mT2_T3_.num_agpr, 0
	.set _ZN7rocprim17ROCPRIM_304000_NS6detail16transform_kernelINS1_24wrapped_transform_configINS0_14default_configEN3c107complexIfEEEES7_PS7_S9_NS0_8identityIS7_EEEEvT1_mT2_T3_.numbered_sgpr, 10
	.set _ZN7rocprim17ROCPRIM_304000_NS6detail16transform_kernelINS1_24wrapped_transform_configINS0_14default_configEN3c107complexIfEEEES7_PS7_S9_NS0_8identityIS7_EEEEvT1_mT2_T3_.num_named_barrier, 0
	.set _ZN7rocprim17ROCPRIM_304000_NS6detail16transform_kernelINS1_24wrapped_transform_configINS0_14default_configEN3c107complexIfEEEES7_PS7_S9_NS0_8identityIS7_EEEEvT1_mT2_T3_.private_seg_size, 0
	.set _ZN7rocprim17ROCPRIM_304000_NS6detail16transform_kernelINS1_24wrapped_transform_configINS0_14default_configEN3c107complexIfEEEES7_PS7_S9_NS0_8identityIS7_EEEEvT1_mT2_T3_.uses_vcc, 1
	.set _ZN7rocprim17ROCPRIM_304000_NS6detail16transform_kernelINS1_24wrapped_transform_configINS0_14default_configEN3c107complexIfEEEES7_PS7_S9_NS0_8identityIS7_EEEEvT1_mT2_T3_.uses_flat_scratch, 0
	.set _ZN7rocprim17ROCPRIM_304000_NS6detail16transform_kernelINS1_24wrapped_transform_configINS0_14default_configEN3c107complexIfEEEES7_PS7_S9_NS0_8identityIS7_EEEEvT1_mT2_T3_.has_dyn_sized_stack, 0
	.set _ZN7rocprim17ROCPRIM_304000_NS6detail16transform_kernelINS1_24wrapped_transform_configINS0_14default_configEN3c107complexIfEEEES7_PS7_S9_NS0_8identityIS7_EEEEvT1_mT2_T3_.has_recursion, 0
	.set _ZN7rocprim17ROCPRIM_304000_NS6detail16transform_kernelINS1_24wrapped_transform_configINS0_14default_configEN3c107complexIfEEEES7_PS7_S9_NS0_8identityIS7_EEEEvT1_mT2_T3_.has_indirect_call, 0
	.section	.AMDGPU.csdata,"",@progbits
; Kernel info:
; codeLenInByte = 120
; TotalNumSgprs: 14
; NumVgprs: 3
; ScratchSize: 0
; MemoryBound: 0
; FloatMode: 240
; IeeeMode: 1
; LDSByteSize: 0 bytes/workgroup (compile time only)
; SGPRBlocks: 1
; VGPRBlocks: 0
; NumSGPRsForWavesPerEU: 14
; NumVGPRsForWavesPerEU: 3
; Occupancy: 10
; WaveLimiterHint : 0
; COMPUTE_PGM_RSRC2:SCRATCH_EN: 0
; COMPUTE_PGM_RSRC2:USER_SGPR: 6
; COMPUTE_PGM_RSRC2:TRAP_HANDLER: 0
; COMPUTE_PGM_RSRC2:TGID_X_EN: 1
; COMPUTE_PGM_RSRC2:TGID_Y_EN: 0
; COMPUTE_PGM_RSRC2:TGID_Z_EN: 0
; COMPUTE_PGM_RSRC2:TIDIG_COMP_CNT: 0
	.section	.text._ZN7rocprim17ROCPRIM_304000_NS6detail18single_scan_kernelILb0ENS1_19wrapped_scan_configINS0_14default_configEN3c107complexIfEEEEPKS7_PS7_St10multipliesIS7_ES7_S7_EEvT1_mT4_T2_T3_,"axG",@progbits,_ZN7rocprim17ROCPRIM_304000_NS6detail18single_scan_kernelILb0ENS1_19wrapped_scan_configINS0_14default_configEN3c107complexIfEEEEPKS7_PS7_St10multipliesIS7_ES7_S7_EEvT1_mT4_T2_T3_,comdat
	.protected	_ZN7rocprim17ROCPRIM_304000_NS6detail18single_scan_kernelILb0ENS1_19wrapped_scan_configINS0_14default_configEN3c107complexIfEEEEPKS7_PS7_St10multipliesIS7_ES7_S7_EEvT1_mT4_T2_T3_ ; -- Begin function _ZN7rocprim17ROCPRIM_304000_NS6detail18single_scan_kernelILb0ENS1_19wrapped_scan_configINS0_14default_configEN3c107complexIfEEEEPKS7_PS7_St10multipliesIS7_ES7_S7_EEvT1_mT4_T2_T3_
	.globl	_ZN7rocprim17ROCPRIM_304000_NS6detail18single_scan_kernelILb0ENS1_19wrapped_scan_configINS0_14default_configEN3c107complexIfEEEEPKS7_PS7_St10multipliesIS7_ES7_S7_EEvT1_mT4_T2_T3_
	.p2align	8
	.type	_ZN7rocprim17ROCPRIM_304000_NS6detail18single_scan_kernelILb0ENS1_19wrapped_scan_configINS0_14default_configEN3c107complexIfEEEEPKS7_PS7_St10multipliesIS7_ES7_S7_EEvT1_mT4_T2_T3_,@function
_ZN7rocprim17ROCPRIM_304000_NS6detail18single_scan_kernelILb0ENS1_19wrapped_scan_configINS0_14default_configEN3c107complexIfEEEEPKS7_PS7_St10multipliesIS7_ES7_S7_EEvT1_mT4_T2_T3_: ; @_ZN7rocprim17ROCPRIM_304000_NS6detail18single_scan_kernelILb0ENS1_19wrapped_scan_configINS0_14default_configEN3c107complexIfEEEEPKS7_PS7_St10multipliesIS7_ES7_S7_EEvT1_mT4_T2_T3_
; %bb.0:
	s_load_dwordx4 s[28:31], s[4:5], 0x0
	v_lshlrev_b32_e32 v31, 3, v0
	s_waitcnt lgkmcnt(0)
	s_load_dwordx2 s[34:35], s[28:29], 0x0
	v_mov_b32_e32 v1, s29
	v_add_co_u32_e32 v3, vcc, s28, v31
	v_cmp_gt_u32_e64 s[0:1], s30, v0
	v_addc_co_u32_e32 v4, vcc, 0, v1, vcc
	s_waitcnt lgkmcnt(0)
	v_mov_b32_e32 v2, s35
	v_mov_b32_e32 v1, s34
	s_and_saveexec_b64 s[2:3], s[0:1]
	s_cbranch_execz .LBB77_2
; %bb.1:
	global_load_dwordx2 v[1:2], v[3:4], off
.LBB77_2:
	s_or_b64 exec, exec, s[2:3]
	v_or_b32_e32 v5, 64, v0
	v_cmp_gt_u32_e64 s[2:3], s30, v5
	v_mov_b32_e32 v6, s35
	v_mov_b32_e32 v5, s34
	s_and_saveexec_b64 s[6:7], s[2:3]
	s_cbranch_execz .LBB77_4
; %bb.3:
	global_load_dwordx2 v[5:6], v[3:4], off offset:512
.LBB77_4:
	s_or_b64 exec, exec, s[6:7]
	v_or_b32_e32 v7, 0x80, v0
	v_cmp_gt_u32_e64 s[20:21], s30, v7
	v_mov_b32_e32 v8, s35
	v_mov_b32_e32 v7, s34
	s_and_saveexec_b64 s[6:7], s[20:21]
	s_cbranch_execz .LBB77_6
; %bb.5:
	global_load_dwordx2 v[7:8], v[3:4], off offset:1024
.LBB77_6:
	;; [unrolled: 10-line block ×7, first 2 shown]
	s_or_b64 exec, exec, s[16:17]
	v_or_b32_e32 v19, 0x200, v0
	v_cmp_gt_u32_e64 s[16:17], s30, v19
	v_mov_b32_e32 v20, s35
	v_mov_b32_e32 v19, s34
	s_and_saveexec_b64 s[18:19], s[16:17]
	s_cbranch_execz .LBB77_18
; %bb.17:
	v_add_co_u32_e32 v19, vcc, 0x1000, v3
	v_addc_co_u32_e32 v20, vcc, 0, v4, vcc
	global_load_dwordx2 v[19:20], v[19:20], off
.LBB77_18:
	s_or_b64 exec, exec, s[18:19]
	v_or_b32_e32 v21, 0x240, v0
	v_cmp_gt_u32_e64 s[18:19], s30, v21
	v_mov_b32_e32 v22, s35
	v_mov_b32_e32 v21, s34
	s_and_saveexec_b64 s[22:23], s[18:19]
	s_cbranch_execz .LBB77_20
; %bb.19:
	v_add_co_u32_e32 v21, vcc, 0x1000, v3
	v_addc_co_u32_e32 v22, vcc, 0, v4, vcc
	global_load_dwordx2 v[21:22], v[21:22], off offset:512
.LBB77_20:
	s_or_b64 exec, exec, s[22:23]
	v_or_b32_e32 v23, 0x280, v0
	v_cmp_gt_u32_e64 s[22:23], s30, v23
	v_mov_b32_e32 v24, s35
	v_mov_b32_e32 v23, s34
	s_and_saveexec_b64 s[24:25], s[22:23]
	s_cbranch_execz .LBB77_22
; %bb.21:
	v_add_co_u32_e32 v23, vcc, 0x1000, v3
	v_addc_co_u32_e32 v24, vcc, 0, v4, vcc
	global_load_dwordx2 v[23:24], v[23:24], off offset:1024
.LBB77_22:
	;; [unrolled: 12-line block ×5, first 2 shown]
	s_or_b64 exec, exec, s[30:31]
	s_movk_i32 s30, 0x68
	s_waitcnt vmcnt(0)
	ds_write2st64_b64 v31, v[1:2], v[5:6] offset1:1
	ds_write2st64_b64 v31, v[7:8], v[9:10] offset0:2 offset1:3
	ds_write2st64_b64 v31, v[11:12], v[13:14] offset0:4 offset1:5
	;; [unrolled: 1-line block ×6, first 2 shown]
	v_mad_u32_u24 v1, v0, s30, v31
	s_waitcnt lgkmcnt(0)
	; wave barrier
	ds_read_b128 v[25:28], v1
	ds_read_b128 v[21:24], v1 offset:16
	ds_read_b128 v[17:20], v1 offset:32
	;; [unrolled: 1-line block ×6, first 2 shown]
	s_waitcnt lgkmcnt(6)
	v_mul_f32_e32 v30, v28, v25
	v_mul_f32_e32 v29, v28, v26
	v_fmac_f32_e32 v30, v27, v26
	v_fma_f32 v29, v27, v25, -v29
	s_waitcnt lgkmcnt(5)
	v_mul_f32_e32 v32, v30, v22
	v_fma_f32 v32, v21, v29, -v32
	v_mul_f32_e32 v29, v29, v22
	v_fmac_f32_e32 v29, v21, v30
	v_mul_f32_e32 v30, v29, v24
	v_fma_f32 v30, v23, v32, -v30
	v_mul_f32_e32 v32, v32, v24
	v_fmac_f32_e32 v32, v23, v29
	s_waitcnt lgkmcnt(4)
	v_mul_f32_e32 v29, v32, v18
	v_fma_f32 v29, v17, v30, -v29
	v_mul_f32_e32 v30, v30, v18
	v_fmac_f32_e32 v30, v17, v32
	v_mul_f32_e32 v32, v30, v20
	v_fma_f32 v32, v19, v29, -v32
	v_mul_f32_e32 v29, v29, v20
	v_fmac_f32_e32 v29, v19, v30
	s_waitcnt lgkmcnt(3)
	v_mul_f32_e32 v30, v29, v14
	v_fma_f32 v30, v13, v32, -v30
	v_mul_f32_e32 v32, v32, v14
	v_fmac_f32_e32 v32, v13, v29
	v_mul_f32_e32 v29, v32, v16
	v_fma_f32 v29, v15, v30, -v29
	v_mul_f32_e32 v30, v30, v16
	v_fmac_f32_e32 v30, v15, v32
	s_waitcnt lgkmcnt(2)
	v_mul_f32_e32 v32, v30, v10
	v_fma_f32 v32, v9, v29, -v32
	v_mul_f32_e32 v29, v29, v10
	v_fmac_f32_e32 v29, v9, v30
	v_mul_f32_e32 v30, v29, v12
	v_fma_f32 v30, v11, v32, -v30
	v_mul_f32_e32 v32, v32, v12
	v_fmac_f32_e32 v32, v11, v29
	s_waitcnt lgkmcnt(1)
	v_mul_f32_e32 v29, v32, v6
	v_fma_f32 v29, v5, v30, -v29
	v_mul_f32_e32 v30, v30, v6
	v_fmac_f32_e32 v30, v5, v32
	v_mul_f32_e32 v32, v30, v8
	v_fma_f32 v32, v7, v29, -v32
	v_mul_f32_e32 v29, v29, v8
	v_fmac_f32_e32 v29, v7, v30
	s_waitcnt lgkmcnt(0)
	v_mul_f32_e32 v30, v29, v2
	v_fma_f32 v30, v1, v32, -v30
	v_mul_f32_e32 v32, v32, v2
	v_fmac_f32_e32 v32, v1, v29
	v_mul_f32_e32 v29, v32, v4
	v_fma_f32 v29, v3, v30, -v29
	v_mul_f32_e32 v30, v30, v4
	v_fmac_f32_e32 v30, v3, v32
	v_mbcnt_lo_u32_b32 v32, -1, 0
	v_mbcnt_hi_u32_b32 v32, -1, v32
	v_and_b32_e32 v33, 15, v32
	v_mov_b32_dpp v34, v29 row_shr:1 row_mask:0xf bank_mask:0xf
	v_mov_b32_dpp v35, v30 row_shr:1 row_mask:0xf bank_mask:0xf
	v_cmp_ne_u32_e32 vcc, 0, v33
	; wave barrier
	s_and_saveexec_b64 s[30:31], vcc
; %bb.29:
	v_mul_f32_e32 v36, v29, v35
	v_fmac_f32_e32 v36, v30, v34
	v_mul_f32_e32 v30, v30, v35
	v_fma_f32 v29, v29, v34, -v30
	v_mov_b32_e32 v30, v36
; %bb.30:
	s_or_b64 exec, exec, s[30:31]
	v_mov_b32_dpp v34, v29 row_shr:2 row_mask:0xf bank_mask:0xf
	v_mov_b32_dpp v35, v30 row_shr:2 row_mask:0xf bank_mask:0xf
	v_cmp_lt_u32_e32 vcc, 1, v33
	s_and_saveexec_b64 s[30:31], vcc
; %bb.31:
	v_mul_f32_e32 v36, v29, v35
	v_fmac_f32_e32 v36, v30, v34
	v_mul_f32_e32 v30, v30, v35
	v_fma_f32 v29, v29, v34, -v30
	v_mov_b32_e32 v30, v36
; %bb.32:
	s_or_b64 exec, exec, s[30:31]
	v_mov_b32_dpp v34, v29 row_shr:4 row_mask:0xf bank_mask:0xf
	v_mov_b32_dpp v35, v30 row_shr:4 row_mask:0xf bank_mask:0xf
	v_cmp_lt_u32_e32 vcc, 3, v33
	;; [unrolled: 12-line block ×3, first 2 shown]
	s_and_saveexec_b64 s[30:31], vcc
; %bb.35:
	v_mul_f32_e32 v33, v29, v35
	v_fmac_f32_e32 v33, v30, v34
	v_mul_f32_e32 v30, v30, v35
	v_fma_f32 v29, v29, v34, -v30
	v_mov_b32_e32 v30, v33
; %bb.36:
	s_or_b64 exec, exec, s[30:31]
	v_and_b32_e32 v35, 16, v32
	v_mov_b32_dpp v33, v29 row_bcast:15 row_mask:0xf bank_mask:0xf
	v_mov_b32_dpp v34, v30 row_bcast:15 row_mask:0xf bank_mask:0xf
	v_cmp_ne_u32_e32 vcc, 0, v35
	s_and_saveexec_b64 s[30:31], vcc
; %bb.37:
	v_mul_f32_e32 v35, v29, v34
	v_fmac_f32_e32 v35, v30, v33
	v_mul_f32_e32 v30, v30, v34
	v_fma_f32 v29, v29, v33, -v30
	v_mov_b32_e32 v30, v35
; %bb.38:
	s_or_b64 exec, exec, s[30:31]
	s_nop 0
	v_mov_b32_dpp v35, v30 row_bcast:31 row_mask:0xf bank_mask:0xf
	v_mov_b32_dpp v34, v29 row_bcast:31 row_mask:0xf bank_mask:0xf
	v_mul_f32_e32 v36, v30, v35
	v_mul_f32_e32 v35, v29, v35
	v_fma_f32 v36, v29, v34, -v36
	v_fmac_f32_e32 v35, v30, v34
	v_cmp_lt_u32_e32 vcc, 31, v32
	v_mul_u32_u24_e32 v33, 0x68, v0
	v_cndmask_b32_e32 v30, v30, v35, vcc
	v_cndmask_b32_e32 v29, v29, v36, vcc
	v_cmp_eq_u32_e32 vcc, 63, v0
	s_and_saveexec_b64 s[30:31], vcc
; %bb.39:
	v_mov_b32_e32 v34, 0
	ds_write_b64 v34, v[29:30]
; %bb.40:
	s_or_b64 exec, exec, s[30:31]
	v_add_u32_e32 v34, -1, v32
	v_and_b32_e32 v35, 64, v32
	v_cmp_lt_i32_e32 vcc, v34, v35
	v_cndmask_b32_e32 v32, v34, v32, vcc
	v_lshlrev_b32_e32 v32, 2, v32
	ds_bpermute_b32 v30, v32, v30
	ds_bpermute_b32 v29, v32, v29
	v_cmp_eq_u32_e32 vcc, 0, v0
	s_waitcnt lgkmcnt(0)
	; wave barrier
	v_mul_f32_e32 v32, v26, v30
	v_mul_f32_e32 v30, v25, v30
	v_fmac_f32_e32 v30, v26, v29
	v_fma_f32 v32, v25, v29, -v32
	v_cndmask_b32_e32 v35, v30, v26, vcc
	v_cndmask_b32_e32 v34, v32, v25, vcc
	v_mul_f32_e32 v37, v27, v35
	v_mul_f32_e32 v0, v28, v35
	v_fmac_f32_e32 v37, v28, v34
	v_fma_f32 v36, v27, v34, -v0
	v_mul_f32_e32 v26, v21, v37
	v_mul_f32_e32 v0, v22, v37
	v_fmac_f32_e32 v26, v22, v36
	v_fma_f32 v25, v21, v36, -v0
	;; [unrolled: 4-line block ×11, first 2 shown]
	v_mul_f32_e32 v0, v2, v12
	v_fma_f32 v0, v1, v11, -v0
	v_mul_f32_e32 v1, v1, v12
	v_fmac_f32_e32 v1, v2, v11
	v_mul_f32_e32 v2, v4, v1
	v_fma_f32 v2, v3, v0, -v2
	v_mul_f32_e32 v3, v3, v1
	v_fmac_f32_e32 v3, v4, v0
	v_add_u32_e32 v4, v31, v33
	; wave barrier
	ds_write_b128 v4, v[34:37]
	ds_write_b128 v4, v[25:28] offset:16
	ds_write_b128 v4, v[21:24] offset:32
	;; [unrolled: 1-line block ×6, first 2 shown]
	s_waitcnt lgkmcnt(0)
	; wave barrier
	ds_read2st64_b64 v[20:23], v31 offset0:1 offset1:2
	ds_read2st64_b64 v[16:19], v31 offset0:3 offset1:4
	;; [unrolled: 1-line block ×6, first 2 shown]
	ds_read_b64 v[24:25], v31 offset:6656
	s_load_dwordx2 s[4:5], s[4:5], 0x18
	s_waitcnt lgkmcnt(0)
	v_mov_b32_e32 v27, s5
	v_add_co_u32_e32 v26, vcc, s4, v31
	v_addc_co_u32_e32 v27, vcc, 0, v27, vcc
	s_and_saveexec_b64 s[4:5], s[0:1]
	s_cbranch_execnz .LBB77_55
; %bb.41:
	s_or_b64 exec, exec, s[4:5]
	s_and_saveexec_b64 s[0:1], s[2:3]
	s_cbranch_execnz .LBB77_56
.LBB77_42:
	s_or_b64 exec, exec, s[0:1]
	s_and_saveexec_b64 s[0:1], s[20:21]
	s_cbranch_execnz .LBB77_57
.LBB77_43:
	s_or_b64 exec, exec, s[0:1]
	s_and_saveexec_b64 s[0:1], s[6:7]
	s_cbranch_execnz .LBB77_58
.LBB77_44:
	s_or_b64 exec, exec, s[0:1]
	s_and_saveexec_b64 s[0:1], s[8:9]
	s_cbranch_execnz .LBB77_59
.LBB77_45:
	s_or_b64 exec, exec, s[0:1]
	s_and_saveexec_b64 s[0:1], s[10:11]
	s_cbranch_execnz .LBB77_60
.LBB77_46:
	s_or_b64 exec, exec, s[0:1]
	s_and_saveexec_b64 s[0:1], s[12:13]
	s_cbranch_execnz .LBB77_61
.LBB77_47:
	s_or_b64 exec, exec, s[0:1]
	s_and_saveexec_b64 s[0:1], s[14:15]
	s_cbranch_execnz .LBB77_62
.LBB77_48:
	s_or_b64 exec, exec, s[0:1]
	s_and_saveexec_b64 s[0:1], s[16:17]
	s_cbranch_execnz .LBB77_63
.LBB77_49:
	s_or_b64 exec, exec, s[0:1]
	s_and_saveexec_b64 s[0:1], s[18:19]
	s_cbranch_execnz .LBB77_64
.LBB77_50:
	s_or_b64 exec, exec, s[0:1]
	s_and_saveexec_b64 s[0:1], s[22:23]
	s_cbranch_execnz .LBB77_65
.LBB77_51:
	s_or_b64 exec, exec, s[0:1]
	s_and_saveexec_b64 s[0:1], s[24:25]
	s_cbranch_execnz .LBB77_66
.LBB77_52:
	s_or_b64 exec, exec, s[0:1]
	s_and_saveexec_b64 s[0:1], s[26:27]
	s_cbranch_execnz .LBB77_67
.LBB77_53:
	s_or_b64 exec, exec, s[0:1]
	s_and_saveexec_b64 s[0:1], s[28:29]
	s_cbranch_execnz .LBB77_68
.LBB77_54:
	s_endpgm
.LBB77_55:
	ds_read_b64 v[28:29], v31
	s_waitcnt lgkmcnt(0)
	global_store_dwordx2 v[26:27], v[28:29], off
	s_or_b64 exec, exec, s[4:5]
	s_and_saveexec_b64 s[0:1], s[2:3]
	s_cbranch_execz .LBB77_42
.LBB77_56:
	global_store_dwordx2 v[26:27], v[20:21], off offset:512
	s_or_b64 exec, exec, s[0:1]
	s_and_saveexec_b64 s[0:1], s[20:21]
	s_cbranch_execz .LBB77_43
.LBB77_57:
	global_store_dwordx2 v[26:27], v[22:23], off offset:1024
	s_or_b64 exec, exec, s[0:1]
	s_and_saveexec_b64 s[0:1], s[6:7]
	s_cbranch_execz .LBB77_44
.LBB77_58:
	global_store_dwordx2 v[26:27], v[16:17], off offset:1536
	s_or_b64 exec, exec, s[0:1]
	s_and_saveexec_b64 s[0:1], s[8:9]
	s_cbranch_execz .LBB77_45
.LBB77_59:
	global_store_dwordx2 v[26:27], v[18:19], off offset:2048
	s_or_b64 exec, exec, s[0:1]
	s_and_saveexec_b64 s[0:1], s[10:11]
	s_cbranch_execz .LBB77_46
.LBB77_60:
	global_store_dwordx2 v[26:27], v[12:13], off offset:2560
	s_or_b64 exec, exec, s[0:1]
	s_and_saveexec_b64 s[0:1], s[12:13]
	s_cbranch_execz .LBB77_47
.LBB77_61:
	global_store_dwordx2 v[26:27], v[14:15], off offset:3072
	s_or_b64 exec, exec, s[0:1]
	s_and_saveexec_b64 s[0:1], s[14:15]
	s_cbranch_execz .LBB77_48
.LBB77_62:
	global_store_dwordx2 v[26:27], v[8:9], off offset:3584
	s_or_b64 exec, exec, s[0:1]
	s_and_saveexec_b64 s[0:1], s[16:17]
	s_cbranch_execz .LBB77_49
.LBB77_63:
	v_add_co_u32_e32 v8, vcc, 0x1000, v26
	v_addc_co_u32_e32 v9, vcc, 0, v27, vcc
	global_store_dwordx2 v[8:9], v[10:11], off
	s_or_b64 exec, exec, s[0:1]
	s_and_saveexec_b64 s[0:1], s[18:19]
	s_cbranch_execz .LBB77_50
.LBB77_64:
	v_add_co_u32_e32 v8, vcc, 0x1000, v26
	v_addc_co_u32_e32 v9, vcc, 0, v27, vcc
	global_store_dwordx2 v[8:9], v[4:5], off offset:512
	s_or_b64 exec, exec, s[0:1]
	s_and_saveexec_b64 s[0:1], s[22:23]
	s_cbranch_execz .LBB77_51
.LBB77_65:
	v_add_co_u32_e32 v4, vcc, 0x1000, v26
	v_addc_co_u32_e32 v5, vcc, 0, v27, vcc
	global_store_dwordx2 v[4:5], v[6:7], off offset:1024
	s_or_b64 exec, exec, s[0:1]
	s_and_saveexec_b64 s[0:1], s[24:25]
	s_cbranch_execz .LBB77_52
.LBB77_66:
	v_add_co_u32_e32 v4, vcc, 0x1000, v26
	v_addc_co_u32_e32 v5, vcc, 0, v27, vcc
	global_store_dwordx2 v[4:5], v[0:1], off offset:1536
	s_or_b64 exec, exec, s[0:1]
	s_and_saveexec_b64 s[0:1], s[26:27]
	s_cbranch_execz .LBB77_53
.LBB77_67:
	v_add_co_u32_e32 v0, vcc, 0x1000, v26
	v_addc_co_u32_e32 v1, vcc, 0, v27, vcc
	global_store_dwordx2 v[0:1], v[2:3], off offset:2048
	s_or_b64 exec, exec, s[0:1]
	s_and_saveexec_b64 s[0:1], s[28:29]
	s_cbranch_execz .LBB77_54
.LBB77_68:
	v_add_co_u32_e32 v0, vcc, 0x1000, v26
	v_addc_co_u32_e32 v1, vcc, 0, v27, vcc
	global_store_dwordx2 v[0:1], v[24:25], off offset:2560
	s_endpgm
	.section	.rodata,"a",@progbits
	.p2align	6, 0x0
	.amdhsa_kernel _ZN7rocprim17ROCPRIM_304000_NS6detail18single_scan_kernelILb0ENS1_19wrapped_scan_configINS0_14default_configEN3c107complexIfEEEEPKS7_PS7_St10multipliesIS7_ES7_S7_EEvT1_mT4_T2_T3_
		.amdhsa_group_segment_fixed_size 7168
		.amdhsa_private_segment_fixed_size 0
		.amdhsa_kernarg_size 36
		.amdhsa_user_sgpr_count 6
		.amdhsa_user_sgpr_private_segment_buffer 1
		.amdhsa_user_sgpr_dispatch_ptr 0
		.amdhsa_user_sgpr_queue_ptr 0
		.amdhsa_user_sgpr_kernarg_segment_ptr 1
		.amdhsa_user_sgpr_dispatch_id 0
		.amdhsa_user_sgpr_flat_scratch_init 0
		.amdhsa_user_sgpr_private_segment_size 0
		.amdhsa_uses_dynamic_stack 0
		.amdhsa_system_sgpr_private_segment_wavefront_offset 0
		.amdhsa_system_sgpr_workgroup_id_x 1
		.amdhsa_system_sgpr_workgroup_id_y 0
		.amdhsa_system_sgpr_workgroup_id_z 0
		.amdhsa_system_sgpr_workgroup_info 0
		.amdhsa_system_vgpr_workitem_id 0
		.amdhsa_next_free_vgpr 65
		.amdhsa_next_free_sgpr 98
		.amdhsa_reserve_vcc 1
		.amdhsa_reserve_flat_scratch 0
		.amdhsa_float_round_mode_32 0
		.amdhsa_float_round_mode_16_64 0
		.amdhsa_float_denorm_mode_32 3
		.amdhsa_float_denorm_mode_16_64 3
		.amdhsa_dx10_clamp 1
		.amdhsa_ieee_mode 1
		.amdhsa_fp16_overflow 0
		.amdhsa_exception_fp_ieee_invalid_op 0
		.amdhsa_exception_fp_denorm_src 0
		.amdhsa_exception_fp_ieee_div_zero 0
		.amdhsa_exception_fp_ieee_overflow 0
		.amdhsa_exception_fp_ieee_underflow 0
		.amdhsa_exception_fp_ieee_inexact 0
		.amdhsa_exception_int_div_zero 0
	.end_amdhsa_kernel
	.section	.text._ZN7rocprim17ROCPRIM_304000_NS6detail18single_scan_kernelILb0ENS1_19wrapped_scan_configINS0_14default_configEN3c107complexIfEEEEPKS7_PS7_St10multipliesIS7_ES7_S7_EEvT1_mT4_T2_T3_,"axG",@progbits,_ZN7rocprim17ROCPRIM_304000_NS6detail18single_scan_kernelILb0ENS1_19wrapped_scan_configINS0_14default_configEN3c107complexIfEEEEPKS7_PS7_St10multipliesIS7_ES7_S7_EEvT1_mT4_T2_T3_,comdat
.Lfunc_end77:
	.size	_ZN7rocprim17ROCPRIM_304000_NS6detail18single_scan_kernelILb0ENS1_19wrapped_scan_configINS0_14default_configEN3c107complexIfEEEEPKS7_PS7_St10multipliesIS7_ES7_S7_EEvT1_mT4_T2_T3_, .Lfunc_end77-_ZN7rocprim17ROCPRIM_304000_NS6detail18single_scan_kernelILb0ENS1_19wrapped_scan_configINS0_14default_configEN3c107complexIfEEEEPKS7_PS7_St10multipliesIS7_ES7_S7_EEvT1_mT4_T2_T3_
                                        ; -- End function
	.set _ZN7rocprim17ROCPRIM_304000_NS6detail18single_scan_kernelILb0ENS1_19wrapped_scan_configINS0_14default_configEN3c107complexIfEEEEPKS7_PS7_St10multipliesIS7_ES7_S7_EEvT1_mT4_T2_T3_.num_vgpr, 38
	.set _ZN7rocprim17ROCPRIM_304000_NS6detail18single_scan_kernelILb0ENS1_19wrapped_scan_configINS0_14default_configEN3c107complexIfEEEEPKS7_PS7_St10multipliesIS7_ES7_S7_EEvT1_mT4_T2_T3_.num_agpr, 0
	.set _ZN7rocprim17ROCPRIM_304000_NS6detail18single_scan_kernelILb0ENS1_19wrapped_scan_configINS0_14default_configEN3c107complexIfEEEEPKS7_PS7_St10multipliesIS7_ES7_S7_EEvT1_mT4_T2_T3_.numbered_sgpr, 36
	.set _ZN7rocprim17ROCPRIM_304000_NS6detail18single_scan_kernelILb0ENS1_19wrapped_scan_configINS0_14default_configEN3c107complexIfEEEEPKS7_PS7_St10multipliesIS7_ES7_S7_EEvT1_mT4_T2_T3_.num_named_barrier, 0
	.set _ZN7rocprim17ROCPRIM_304000_NS6detail18single_scan_kernelILb0ENS1_19wrapped_scan_configINS0_14default_configEN3c107complexIfEEEEPKS7_PS7_St10multipliesIS7_ES7_S7_EEvT1_mT4_T2_T3_.private_seg_size, 0
	.set _ZN7rocprim17ROCPRIM_304000_NS6detail18single_scan_kernelILb0ENS1_19wrapped_scan_configINS0_14default_configEN3c107complexIfEEEEPKS7_PS7_St10multipliesIS7_ES7_S7_EEvT1_mT4_T2_T3_.uses_vcc, 1
	.set _ZN7rocprim17ROCPRIM_304000_NS6detail18single_scan_kernelILb0ENS1_19wrapped_scan_configINS0_14default_configEN3c107complexIfEEEEPKS7_PS7_St10multipliesIS7_ES7_S7_EEvT1_mT4_T2_T3_.uses_flat_scratch, 0
	.set _ZN7rocprim17ROCPRIM_304000_NS6detail18single_scan_kernelILb0ENS1_19wrapped_scan_configINS0_14default_configEN3c107complexIfEEEEPKS7_PS7_St10multipliesIS7_ES7_S7_EEvT1_mT4_T2_T3_.has_dyn_sized_stack, 0
	.set _ZN7rocprim17ROCPRIM_304000_NS6detail18single_scan_kernelILb0ENS1_19wrapped_scan_configINS0_14default_configEN3c107complexIfEEEEPKS7_PS7_St10multipliesIS7_ES7_S7_EEvT1_mT4_T2_T3_.has_recursion, 0
	.set _ZN7rocprim17ROCPRIM_304000_NS6detail18single_scan_kernelILb0ENS1_19wrapped_scan_configINS0_14default_configEN3c107complexIfEEEEPKS7_PS7_St10multipliesIS7_ES7_S7_EEvT1_mT4_T2_T3_.has_indirect_call, 0
	.section	.AMDGPU.csdata,"",@progbits
; Kernel info:
; codeLenInByte = 2504
; TotalNumSgprs: 40
; NumVgprs: 38
; ScratchSize: 0
; MemoryBound: 0
; FloatMode: 240
; IeeeMode: 1
; LDSByteSize: 7168 bytes/workgroup (compile time only)
; SGPRBlocks: 12
; VGPRBlocks: 16
; NumSGPRsForWavesPerEU: 102
; NumVGPRsForWavesPerEU: 65
; Occupancy: 3
; WaveLimiterHint : 0
; COMPUTE_PGM_RSRC2:SCRATCH_EN: 0
; COMPUTE_PGM_RSRC2:USER_SGPR: 6
; COMPUTE_PGM_RSRC2:TRAP_HANDLER: 0
; COMPUTE_PGM_RSRC2:TGID_X_EN: 1
; COMPUTE_PGM_RSRC2:TGID_Y_EN: 0
; COMPUTE_PGM_RSRC2:TGID_Z_EN: 0
; COMPUTE_PGM_RSRC2:TIDIG_COMP_CNT: 0
	.section	.text._ZN2at6native32tensor_kernel_scan_innermost_dimIN3c107complexIfEESt10multipliesIS4_EEEvPT_PKS7_jjjS7_T0_,"axG",@progbits,_ZN2at6native32tensor_kernel_scan_innermost_dimIN3c107complexIfEESt10multipliesIS4_EEEvPT_PKS7_jjjS7_T0_,comdat
	.protected	_ZN2at6native32tensor_kernel_scan_innermost_dimIN3c107complexIfEESt10multipliesIS4_EEEvPT_PKS7_jjjS7_T0_ ; -- Begin function _ZN2at6native32tensor_kernel_scan_innermost_dimIN3c107complexIfEESt10multipliesIS4_EEEvPT_PKS7_jjjS7_T0_
	.globl	_ZN2at6native32tensor_kernel_scan_innermost_dimIN3c107complexIfEESt10multipliesIS4_EEEvPT_PKS7_jjjS7_T0_
	.p2align	8
	.type	_ZN2at6native32tensor_kernel_scan_innermost_dimIN3c107complexIfEESt10multipliesIS4_EEEvPT_PKS7_jjjS7_T0_,@function
_ZN2at6native32tensor_kernel_scan_innermost_dimIN3c107complexIfEESt10multipliesIS4_EEEvPT_PKS7_jjjS7_T0_: ; @_ZN2at6native32tensor_kernel_scan_innermost_dimIN3c107complexIfEESt10multipliesIS4_EEEvPT_PKS7_jjjS7_T0_
; %bb.0:
	s_load_dwordx8 s[12:19], s[4:5], 0x0
	v_mov_b32_e32 v2, v1
	s_load_dwordx2 s[20:21], s[4:5], 0x20
	s_waitcnt lgkmcnt(0)
	s_lshl_b32 s7, 2, s18
	v_mul_lo_u32 v1, s7, v2
	s_mul_hi_u32 s0, s16, s17
	s_cmp_lg_u32 s0, 0
	s_mov_b64 s[0:1], -1
	v_lshl_add_u32 v10, v1, 3, 0
	s_cbranch_scc1 .LBB78_30
; %bb.1:
	s_load_dword s2, s[4:5], 0x3c
	s_add_u32 s0, s4, 48
	s_addc_u32 s1, s5, 0
	s_waitcnt lgkmcnt(0)
	s_lshr_b32 s2, s2, 16
	s_mul_i32 s19, s6, s2
	s_cmp_ge_u32 s19, s16
	s_cbranch_scc1 .LBB78_29
; %bb.2:
	s_load_dword s27, s[0:1], 0x0
	s_lshl_b32 s26, 1, s18
	s_cmp_lg_u32 s17, 0
	s_cselect_b64 s[8:9], -1, 0
	v_lshl_add_u32 v1, v0, 3, v10
	s_lshl_b32 s3, s7, 3
	v_cndmask_b32_e64 v3, 0, 1, s[8:9]
	v_lshl_add_u32 v9, s26, 3, v1
	v_cmp_eq_u32_e64 s[0:1], 0, v0
	v_add3_u32 v11, v10, s3, -8
	s_waitcnt lgkmcnt(0)
	s_mul_i32 s27, s27, s2
	s_add_i32 s28, s18, 1
	v_cmp_ne_u32_e64 s[2:3], 1, v3
	v_mov_b32_e32 v4, 0
	s_branch .LBB78_4
.LBB78_3:                               ;   in Loop: Header=BB78_4 Depth=1
	s_add_i32 s19, s19, s27
	s_cmp_ge_u32 s19, s16
	s_cbranch_scc1 .LBB78_29
.LBB78_4:                               ; =>This Loop Header: Depth=1
                                        ;     Child Loop BB78_7 Depth 2
                                        ;       Child Loop BB78_18 Depth 3
	s_and_b64 vcc, exec, s[2:3]
	s_cbranch_vccnz .LBB78_3
; %bb.5:                                ;   in Loop: Header=BB78_4 Depth=1
	v_add_u32_e32 v7, s19, v2
	v_mul_lo_u32 v3, v7, s17
	v_mov_b32_e32 v8, s15
	v_cmp_le_u32_e64 s[8:9], s16, v7
	s_mov_b32 s29, 0
	v_lshlrev_b64 v[5:6], 3, v[3:4]
	v_mov_b32_e32 v3, s13
	v_add_co_u32_e32 v12, vcc, s14, v5
	v_addc_co_u32_e32 v13, vcc, v8, v6, vcc
	v_add_co_u32_e32 v14, vcc, s12, v5
	v_addc_co_u32_e32 v15, vcc, v3, v6, vcc
	v_cmp_gt_u32_e32 vcc, s16, v7
	v_mov_b32_e32 v8, s21
	v_mov_b32_e32 v7, s20
	s_branch .LBB78_7
.LBB78_6:                               ;   in Loop: Header=BB78_7 Depth=2
	s_or_b64 exec, exec, s[22:23]
	ds_read_b64 v[7:8], v11
	s_add_i32 s29, s29, s7
	s_cmp_ge_u32 s29, s17
	s_waitcnt vmcnt(0) lgkmcnt(0)
	s_barrier
	s_cbranch_scc1 .LBB78_3
.LBB78_7:                               ;   Parent Loop BB78_4 Depth=1
                                        ; =>  This Loop Header: Depth=2
                                        ;       Child Loop BB78_18 Depth 3
	v_add_u32_e32 v3, s29, v0
	v_add_u32_e32 v5, s26, v3
	s_and_saveexec_b64 s[22:23], vcc
	s_cbranch_execz .LBB78_16
; %bb.8:                                ;   in Loop: Header=BB78_7 Depth=2
	v_cmp_le_u32_e64 s[10:11], s17, v3
	s_and_saveexec_b64 s[24:25], s[10:11]
	s_xor_b64 s[10:11], exec, s[24:25]
; %bb.9:                                ;   in Loop: Header=BB78_7 Depth=2
	v_mov_b32_e32 v16, s20
	v_mov_b32_e32 v17, s21
	ds_write_b64 v1, v[16:17]
; %bb.10:                               ;   in Loop: Header=BB78_7 Depth=2
	s_andn2_saveexec_b64 s[24:25], s[10:11]
	s_cbranch_execz .LBB78_12
; %bb.11:                               ;   in Loop: Header=BB78_7 Depth=2
	v_lshlrev_b64 v[16:17], 3, v[3:4]
	v_add_co_u32_e64 v16, s[10:11], v12, v16
	v_addc_co_u32_e64 v17, s[10:11], v13, v17, s[10:11]
	global_load_dwordx2 v[16:17], v[16:17], off
	s_waitcnt vmcnt(0)
	ds_write_b64 v1, v[16:17]
.LBB78_12:                              ;   in Loop: Header=BB78_7 Depth=2
	s_or_b64 exec, exec, s[24:25]
	v_cmp_le_u32_e64 s[10:11], s17, v5
	s_and_saveexec_b64 s[24:25], s[10:11]
	s_xor_b64 s[10:11], exec, s[24:25]
	s_cbranch_execnz .LBB78_27
; %bb.13:                               ;   in Loop: Header=BB78_7 Depth=2
	s_andn2_saveexec_b64 s[24:25], s[10:11]
	s_cbranch_execnz .LBB78_28
.LBB78_14:                              ;   in Loop: Header=BB78_7 Depth=2
	s_or_b64 exec, exec, s[24:25]
	s_and_b64 exec, exec, s[0:1]
	s_cbranch_execz .LBB78_16
.LBB78_15:                              ;   in Loop: Header=BB78_7 Depth=2
	ds_read_b64 v[16:17], v10
	s_waitcnt lgkmcnt(0)
	v_mul_f32_e32 v6, v8, v17
	v_mul_f32_e32 v18, v7, v17
	v_fma_f32 v17, v7, v16, -v6
	v_fmac_f32_e32 v18, v8, v16
	ds_write_b64 v10, v[17:18]
.LBB78_16:                              ;   in Loop: Header=BB78_7 Depth=2
	s_or_b64 exec, exec, s[22:23]
	v_mov_b32_e32 v6, 0
	s_mov_b64 s[22:23], 0
	s_waitcnt lgkmcnt(0)
	s_barrier
	s_branch .LBB78_18
.LBB78_17:                              ;   in Loop: Header=BB78_18 Depth=3
	s_or_b64 exec, exec, s[10:11]
	v_cmp_eq_u32_e64 s[10:11], s28, v6
	s_or_b64 s[22:23], s[10:11], s[22:23]
	s_waitcnt lgkmcnt(0)
	s_barrier
	s_andn2_b64 exec, exec, s[22:23]
	s_cbranch_execz .LBB78_22
.LBB78_18:                              ;   Parent Loop BB78_4 Depth=1
                                        ;     Parent Loop BB78_7 Depth=2
                                        ; =>    This Inner Loop Header: Depth=3
	v_add_u32_e32 v7, 1, v6
	s_and_saveexec_b64 s[10:11], s[8:9]
	s_xor_b64 s[10:11], exec, s[10:11]
; %bb.19:                               ;   in Loop: Header=BB78_18 Depth=3
	v_add_u32_e32 v6, 1, v6
                                        ; implicit-def: $vgpr7
; %bb.20:                               ;   in Loop: Header=BB78_18 Depth=3
	s_andn2_saveexec_b64 s[10:11], s[10:11]
	s_cbranch_execz .LBB78_17
; %bb.21:                               ;   in Loop: Header=BB78_18 Depth=3
	v_lshlrev_b32_e64 v8, v6, 1
	v_lshrrev_b32_e32 v16, v6, v0
	v_lshl_or_b32 v8, v16, v7, v8
	v_bfm_b32 v6, v6, 0
	v_and_b32_e32 v6, v6, v0
	v_lshl_add_u32 v8, v8, 3, v10
	v_lshl_add_u32 v6, v6, 3, v8
	v_add_u32_e32 v8, -8, v8
	ds_read_b64 v[16:17], v6
	ds_read_b64 v[18:19], v8
	s_waitcnt lgkmcnt(0)
	v_mul_f32_e32 v8, v19, v17
	v_mul_f32_e32 v21, v18, v17
	v_fma_f32 v20, v18, v16, -v8
	v_fmac_f32_e32 v21, v19, v16
	ds_write_b64 v6, v[20:21]
	v_mov_b32_e32 v6, v7
	s_branch .LBB78_17
.LBB78_22:                              ;   in Loop: Header=BB78_7 Depth=2
	s_or_b64 exec, exec, s[22:23]
	s_and_saveexec_b64 s[22:23], vcc
	s_cbranch_execz .LBB78_6
; %bb.23:                               ;   in Loop: Header=BB78_7 Depth=2
	v_cmp_gt_u32_e64 s[10:11], s17, v3
	s_and_saveexec_b64 s[24:25], s[10:11]
	s_cbranch_execz .LBB78_25
; %bb.24:                               ;   in Loop: Header=BB78_7 Depth=2
	ds_read_b64 v[16:17], v1
	v_lshlrev_b64 v[6:7], 3, v[3:4]
	v_add_co_u32_e64 v6, s[10:11], v14, v6
	v_addc_co_u32_e64 v7, s[10:11], v15, v7, s[10:11]
	s_waitcnt lgkmcnt(0)
	global_store_dwordx2 v[6:7], v[16:17], off
.LBB78_25:                              ;   in Loop: Header=BB78_7 Depth=2
	s_or_b64 exec, exec, s[24:25]
	v_cmp_gt_u32_e64 s[10:11], s17, v5
	s_and_b64 exec, exec, s[10:11]
	s_cbranch_execz .LBB78_6
; %bb.26:                               ;   in Loop: Header=BB78_7 Depth=2
	v_mov_b32_e32 v6, v4
	ds_read_b64 v[7:8], v9
	v_lshlrev_b64 v[5:6], 3, v[5:6]
	v_add_co_u32_e64 v5, s[10:11], v14, v5
	v_addc_co_u32_e64 v6, s[10:11], v15, v6, s[10:11]
	s_waitcnt lgkmcnt(0)
	global_store_dwordx2 v[5:6], v[7:8], off
	s_branch .LBB78_6
.LBB78_27:                              ;   in Loop: Header=BB78_7 Depth=2
	v_mov_b32_e32 v16, s20
	v_mov_b32_e32 v17, s21
	ds_write_b64 v9, v[16:17]
	s_andn2_saveexec_b64 s[24:25], s[10:11]
	s_cbranch_execz .LBB78_14
.LBB78_28:                              ;   in Loop: Header=BB78_7 Depth=2
	v_mov_b32_e32 v6, v4
	v_lshlrev_b64 v[16:17], 3, v[5:6]
	v_add_co_u32_e64 v16, s[10:11], v12, v16
	v_addc_co_u32_e64 v17, s[10:11], v13, v17, s[10:11]
	global_load_dwordx2 v[16:17], v[16:17], off
	s_waitcnt vmcnt(0)
	ds_write_b64 v9, v[16:17]
	s_or_b64 exec, exec, s[24:25]
	s_and_b64 exec, exec, s[0:1]
	s_cbranch_execnz .LBB78_15
	s_branch .LBB78_16
.LBB78_29:
	s_mov_b64 s[0:1], 0
.LBB78_30:
	s_andn2_b64 vcc, exec, s[0:1]
	s_cbranch_vccnz .LBB78_61
; %bb.31:
	s_load_dword s2, s[4:5], 0x3c
	s_add_u32 s0, s4, 48
	s_mov_b32 s8, s16
	s_mov_b32 s9, 0
	s_addc_u32 s1, s5, 0
	s_waitcnt lgkmcnt(0)
	s_lshr_b32 s2, s2, 16
	v_mov_b32_e32 v3, s8
	s_mul_hi_u32 s11, s2, s6
	s_mul_i32 s10, s2, s6
	v_mov_b32_e32 v4, s9
	v_cmp_ge_u64_e32 vcc, s[10:11], v[3:4]
	s_cbranch_vccnz .LBB78_61
; %bb.32:
	s_lshl_b32 s22, 1, s18
	s_load_dword s5, s[0:1], 0x0
	s_and_b32 s4, 0xffff, s2
	s_ashr_i32 s23, s22, 31
	s_cmp_lg_u32 s17, 0
	s_mov_b32 s24, s17
	s_cselect_b64 s[2:3], -1, 0
	s_lshl_b64 s[16:17], s[22:23], 1
	v_lshl_add_u32 v11, v0, 3, v10
	s_lshl_b32 s6, s16, 3
	v_cndmask_b32_e64 v3, 0, 1, s[2:3]
	v_mov_b32_e32 v1, 0
	s_mov_b32 s25, s9
	v_lshl_add_u32 v12, s22, 3, v11
	v_cmp_eq_u32_e64 s[0:1], 0, v0
	v_add3_u32 v13, v10, s6, -8
	s_waitcnt lgkmcnt(0)
	s_mul_i32 s33, s5, s4
	s_add_i32 s34, s18, 1
	v_cmp_ne_u32_e64 s[2:3], 1, v3
	s_branch .LBB78_34
.LBB78_33:                              ;   in Loop: Header=BB78_34 Depth=1
	s_add_u32 s10, s10, s33
	v_mov_b32_e32 v3, s8
	s_addc_u32 s11, s11, 0
	v_mov_b32_e32 v4, s9
	v_cmp_ge_u64_e32 vcc, s[10:11], v[3:4]
	s_cbranch_vccnz .LBB78_61
.LBB78_34:                              ; =>This Loop Header: Depth=1
                                        ;     Child Loop BB78_37 Depth 2
                                        ;       Child Loop BB78_49 Depth 3
	s_and_b64 vcc, exec, s[2:3]
	s_cbranch_vccnz .LBB78_33
; %bb.35:                               ;   in Loop: Header=BB78_34 Depth=1
	v_add_co_u32_e32 v3, vcc, s10, v2
	v_mad_u64_u32 v[5:6], s[4:5], v3, s24, 0
	v_mov_b32_e32 v4, s11
	v_addc_co_u32_e32 v4, vcc, 0, v4, vcc
	v_mad_u64_u32 v[6:7], s[4:5], v4, s24, v[6:7]
	v_mov_b32_e32 v7, s15
	v_cmp_gt_u64_e64 s[4:5], s[8:9], v[3:4]
	v_lshlrev_b64 v[5:6], 3, v[5:6]
	v_cmp_le_u64_e64 s[6:7], s[8:9], v[3:4]
	v_add_co_u32_e32 v14, vcc, s14, v5
	v_addc_co_u32_e32 v15, vcc, v7, v6, vcc
	v_mov_b32_e32 v7, s13
	v_add_co_u32_e32 v16, vcc, s12, v5
	v_addc_co_u32_e32 v17, vcc, v7, v6, vcc
	s_mov_b64 s[18:19], 0
	v_mov_b32_e32 v8, s21
	v_mov_b32_e32 v7, s20
	s_branch .LBB78_37
.LBB78_36:                              ;   in Loop: Header=BB78_37 Depth=2
	s_or_b64 exec, exec, s[26:27]
	ds_read_b64 v[7:8], v13
	s_add_u32 s18, s18, s16
	v_mov_b32_e32 v3, s24
	s_addc_u32 s19, s19, s17
	v_mov_b32_e32 v4, s25
	v_cmp_ge_u64_e32 vcc, s[18:19], v[3:4]
	s_waitcnt lgkmcnt(0)
	s_waitcnt vmcnt(0)
	s_barrier
	s_cbranch_vccnz .LBB78_33
.LBB78_37:                              ;   Parent Loop BB78_34 Depth=1
                                        ; =>  This Loop Header: Depth=2
                                        ;       Child Loop BB78_49 Depth 3
	v_mov_b32_e32 v3, s19
	v_add_co_u32_e32 v5, vcc, s18, v0
	v_addc_co_u32_e32 v6, vcc, 0, v3, vcc
	v_mov_b32_e32 v4, s23
	v_add_co_u32_e32 v3, vcc, s22, v5
	v_addc_co_u32_e32 v4, vcc, v6, v4, vcc
	s_and_saveexec_b64 s[26:27], s[4:5]
	s_cbranch_execz .LBB78_46
; %bb.38:                               ;   in Loop: Header=BB78_37 Depth=2
	v_cmp_le_u64_e32 vcc, s[24:25], v[5:6]
	s_and_saveexec_b64 s[28:29], vcc
	s_xor_b64 s[28:29], exec, s[28:29]
; %bb.39:                               ;   in Loop: Header=BB78_37 Depth=2
	v_mov_b32_e32 v18, s20
	v_mov_b32_e32 v19, s21
	ds_write_b64 v11, v[18:19]
; %bb.40:                               ;   in Loop: Header=BB78_37 Depth=2
	s_andn2_saveexec_b64 s[28:29], s[28:29]
	s_cbranch_execz .LBB78_42
; %bb.41:                               ;   in Loop: Header=BB78_37 Depth=2
	v_lshlrev_b64 v[18:19], 3, v[5:6]
	v_add_co_u32_e32 v18, vcc, v14, v18
	v_addc_co_u32_e32 v19, vcc, v15, v19, vcc
	global_load_dwordx2 v[18:19], v[18:19], off
	s_waitcnt vmcnt(0)
	ds_write_b64 v11, v[18:19]
.LBB78_42:                              ;   in Loop: Header=BB78_37 Depth=2
	s_or_b64 exec, exec, s[28:29]
	v_cmp_le_u64_e32 vcc, s[24:25], v[3:4]
	s_and_saveexec_b64 s[28:29], vcc
	s_xor_b64 s[28:29], exec, s[28:29]
	s_cbranch_execnz .LBB78_59
; %bb.43:                               ;   in Loop: Header=BB78_37 Depth=2
	s_andn2_saveexec_b64 s[28:29], s[28:29]
	s_cbranch_execnz .LBB78_60
.LBB78_44:                              ;   in Loop: Header=BB78_37 Depth=2
	s_or_b64 exec, exec, s[28:29]
	s_and_b64 exec, exec, s[0:1]
	s_cbranch_execz .LBB78_46
.LBB78_45:                              ;   in Loop: Header=BB78_37 Depth=2
	ds_read_b64 v[18:19], v10
	s_waitcnt lgkmcnt(0)
	v_mul_f32_e32 v9, v8, v19
	v_mul_f32_e32 v20, v7, v19
	v_fma_f32 v19, v7, v18, -v9
	v_fmac_f32_e32 v20, v8, v18
	ds_write_b64 v10, v[19:20]
.LBB78_46:                              ;   in Loop: Header=BB78_37 Depth=2
	s_or_b64 exec, exec, s[26:27]
	v_mov_b32_e32 v19, 0
	s_mov_b64 s[26:27], 0
	s_waitcnt lgkmcnt(0)
	s_barrier
	s_branch .LBB78_49
.LBB78_47:                              ;   in Loop: Header=BB78_49 Depth=3
	s_or_b64 exec, exec, s[30:31]
	v_lshrrev_b32_e32 v9, v19, v0
	v_lshl_or_b32 v7, v9, v18, v7
	v_lshl_add_u32 v7, v7, 3, v10
	v_lshl_add_u32 v21, v8, 3, v7
	v_add_u32_e32 v9, -8, v7
	ds_read_b64 v[7:8], v21
	ds_read_b64 v[19:20], v9
	s_waitcnt lgkmcnt(0)
	v_mul_f32_e32 v22, v20, v8
	v_mul_f32_e32 v9, v19, v8
	v_fma_f32 v8, v19, v7, -v22
	v_fmac_f32_e32 v9, v20, v7
	ds_write_b64 v21, v[8:9]
.LBB78_48:                              ;   in Loop: Header=BB78_49 Depth=3
	s_or_b64 exec, exec, s[28:29]
	v_cmp_eq_u32_e32 vcc, s34, v18
	s_or_b64 s[26:27], vcc, s[26:27]
	v_mov_b32_e32 v19, v18
	s_waitcnt lgkmcnt(0)
	s_barrier
	s_andn2_b64 exec, exec, s[26:27]
	s_cbranch_execz .LBB78_54
.LBB78_49:                              ;   Parent Loop BB78_34 Depth=1
                                        ;     Parent Loop BB78_37 Depth=2
                                        ; =>    This Inner Loop Header: Depth=3
	v_add_u32_e32 v18, 1, v19
	s_and_saveexec_b64 s[28:29], s[6:7]
	s_xor_b64 s[28:29], exec, s[28:29]
; %bb.50:                               ;   in Loop: Header=BB78_49 Depth=3
	v_add_u32_e32 v18, 1, v19
                                        ; implicit-def: $vgpr19
; %bb.51:                               ;   in Loop: Header=BB78_49 Depth=3
	s_andn2_saveexec_b64 s[28:29], s[28:29]
	s_cbranch_execz .LBB78_48
; %bb.52:                               ;   in Loop: Header=BB78_49 Depth=3
	v_lshlrev_b32_e64 v7, v19, 1
	v_ashrrev_i32_e32 v8, 31, v7
	v_cmp_ge_u64_e32 vcc, v[0:1], v[7:8]
	v_mov_b32_e32 v9, v1
	v_mov_b32_e32 v8, v0
	s_and_saveexec_b64 s[30:31], vcc
	s_cbranch_execz .LBB78_47
; %bb.53:                               ;   in Loop: Header=BB78_49 Depth=3
	v_cvt_f32_u32_e32 v8, v7
	v_sub_u32_e32 v9, 0, v7
	v_rcp_iflag_f32_e32 v8, v8
	v_mul_f32_e32 v8, 0x4f7ffffe, v8
	v_cvt_u32_f32_e32 v8, v8
	v_mul_lo_u32 v9, v9, v8
	v_mul_hi_u32 v9, v8, v9
	v_add_u32_e32 v8, v8, v9
	v_mul_hi_u32 v8, v0, v8
	v_mul_lo_u32 v8, v8, v7
	v_sub_u32_e32 v8, v0, v8
	v_sub_u32_e32 v9, v8, v7
	v_cmp_ge_u32_e32 vcc, v8, v7
	v_cndmask_b32_e32 v8, v8, v9, vcc
	v_sub_u32_e32 v9, v8, v7
	v_cmp_ge_u32_e32 vcc, v8, v7
	v_cndmask_b32_e32 v8, v8, v9, vcc
	s_branch .LBB78_47
.LBB78_54:                              ;   in Loop: Header=BB78_37 Depth=2
	s_or_b64 exec, exec, s[26:27]
	s_and_saveexec_b64 s[26:27], s[4:5]
	s_cbranch_execz .LBB78_36
; %bb.55:                               ;   in Loop: Header=BB78_37 Depth=2
	v_cmp_gt_u64_e32 vcc, s[24:25], v[5:6]
	s_and_saveexec_b64 s[28:29], vcc
	s_cbranch_execz .LBB78_57
; %bb.56:                               ;   in Loop: Header=BB78_37 Depth=2
	ds_read_b64 v[7:8], v11
	v_lshlrev_b64 v[5:6], 3, v[5:6]
	v_add_co_u32_e32 v5, vcc, v16, v5
	v_addc_co_u32_e32 v6, vcc, v17, v6, vcc
	s_waitcnt lgkmcnt(0)
	global_store_dwordx2 v[5:6], v[7:8], off
.LBB78_57:                              ;   in Loop: Header=BB78_37 Depth=2
	s_or_b64 exec, exec, s[28:29]
	v_cmp_gt_u64_e32 vcc, s[24:25], v[3:4]
	s_and_b64 exec, exec, vcc
	s_cbranch_execz .LBB78_36
; %bb.58:                               ;   in Loop: Header=BB78_37 Depth=2
	ds_read_b64 v[5:6], v12
	v_lshlrev_b64 v[3:4], 3, v[3:4]
	v_add_co_u32_e32 v3, vcc, v16, v3
	v_addc_co_u32_e32 v4, vcc, v17, v4, vcc
	s_waitcnt lgkmcnt(0)
	global_store_dwordx2 v[3:4], v[5:6], off
	s_branch .LBB78_36
.LBB78_59:                              ;   in Loop: Header=BB78_37 Depth=2
	v_mov_b32_e32 v18, s20
	v_mov_b32_e32 v19, s21
	ds_write_b64 v12, v[18:19]
	s_andn2_saveexec_b64 s[28:29], s[28:29]
	s_cbranch_execz .LBB78_44
.LBB78_60:                              ;   in Loop: Header=BB78_37 Depth=2
	v_lshlrev_b64 v[18:19], 3, v[3:4]
	v_add_co_u32_e32 v18, vcc, v14, v18
	v_addc_co_u32_e32 v19, vcc, v15, v19, vcc
	global_load_dwordx2 v[18:19], v[18:19], off
	s_waitcnt vmcnt(0)
	ds_write_b64 v12, v[18:19]
	s_or_b64 exec, exec, s[28:29]
	s_and_b64 exec, exec, s[0:1]
	s_cbranch_execnz .LBB78_45
	s_branch .LBB78_46
.LBB78_61:
	s_endpgm
	.section	.rodata,"a",@progbits
	.p2align	6, 0x0
	.amdhsa_kernel _ZN2at6native32tensor_kernel_scan_innermost_dimIN3c107complexIfEESt10multipliesIS4_EEEvPT_PKS7_jjjS7_T0_
		.amdhsa_group_segment_fixed_size 0
		.amdhsa_private_segment_fixed_size 0
		.amdhsa_kernarg_size 304
		.amdhsa_user_sgpr_count 6
		.amdhsa_user_sgpr_private_segment_buffer 1
		.amdhsa_user_sgpr_dispatch_ptr 0
		.amdhsa_user_sgpr_queue_ptr 0
		.amdhsa_user_sgpr_kernarg_segment_ptr 1
		.amdhsa_user_sgpr_dispatch_id 0
		.amdhsa_user_sgpr_flat_scratch_init 0
		.amdhsa_user_sgpr_private_segment_size 0
		.amdhsa_uses_dynamic_stack 0
		.amdhsa_system_sgpr_private_segment_wavefront_offset 0
		.amdhsa_system_sgpr_workgroup_id_x 1
		.amdhsa_system_sgpr_workgroup_id_y 0
		.amdhsa_system_sgpr_workgroup_id_z 0
		.amdhsa_system_sgpr_workgroup_info 0
		.amdhsa_system_vgpr_workitem_id 1
		.amdhsa_next_free_vgpr 23
		.amdhsa_next_free_sgpr 35
		.amdhsa_reserve_vcc 1
		.amdhsa_reserve_flat_scratch 0
		.amdhsa_float_round_mode_32 0
		.amdhsa_float_round_mode_16_64 0
		.amdhsa_float_denorm_mode_32 3
		.amdhsa_float_denorm_mode_16_64 3
		.amdhsa_dx10_clamp 1
		.amdhsa_ieee_mode 1
		.amdhsa_fp16_overflow 0
		.amdhsa_exception_fp_ieee_invalid_op 0
		.amdhsa_exception_fp_denorm_src 0
		.amdhsa_exception_fp_ieee_div_zero 0
		.amdhsa_exception_fp_ieee_overflow 0
		.amdhsa_exception_fp_ieee_underflow 0
		.amdhsa_exception_fp_ieee_inexact 0
		.amdhsa_exception_int_div_zero 0
	.end_amdhsa_kernel
	.section	.text._ZN2at6native32tensor_kernel_scan_innermost_dimIN3c107complexIfEESt10multipliesIS4_EEEvPT_PKS7_jjjS7_T0_,"axG",@progbits,_ZN2at6native32tensor_kernel_scan_innermost_dimIN3c107complexIfEESt10multipliesIS4_EEEvPT_PKS7_jjjS7_T0_,comdat
.Lfunc_end78:
	.size	_ZN2at6native32tensor_kernel_scan_innermost_dimIN3c107complexIfEESt10multipliesIS4_EEEvPT_PKS7_jjjS7_T0_, .Lfunc_end78-_ZN2at6native32tensor_kernel_scan_innermost_dimIN3c107complexIfEESt10multipliesIS4_EEEvPT_PKS7_jjjS7_T0_
                                        ; -- End function
	.set _ZN2at6native32tensor_kernel_scan_innermost_dimIN3c107complexIfEESt10multipliesIS4_EEEvPT_PKS7_jjjS7_T0_.num_vgpr, 23
	.set _ZN2at6native32tensor_kernel_scan_innermost_dimIN3c107complexIfEESt10multipliesIS4_EEEvPT_PKS7_jjjS7_T0_.num_agpr, 0
	.set _ZN2at6native32tensor_kernel_scan_innermost_dimIN3c107complexIfEESt10multipliesIS4_EEEvPT_PKS7_jjjS7_T0_.numbered_sgpr, 35
	.set _ZN2at6native32tensor_kernel_scan_innermost_dimIN3c107complexIfEESt10multipliesIS4_EEEvPT_PKS7_jjjS7_T0_.num_named_barrier, 0
	.set _ZN2at6native32tensor_kernel_scan_innermost_dimIN3c107complexIfEESt10multipliesIS4_EEEvPT_PKS7_jjjS7_T0_.private_seg_size, 0
	.set _ZN2at6native32tensor_kernel_scan_innermost_dimIN3c107complexIfEESt10multipliesIS4_EEEvPT_PKS7_jjjS7_T0_.uses_vcc, 1
	.set _ZN2at6native32tensor_kernel_scan_innermost_dimIN3c107complexIfEESt10multipliesIS4_EEEvPT_PKS7_jjjS7_T0_.uses_flat_scratch, 0
	.set _ZN2at6native32tensor_kernel_scan_innermost_dimIN3c107complexIfEESt10multipliesIS4_EEEvPT_PKS7_jjjS7_T0_.has_dyn_sized_stack, 0
	.set _ZN2at6native32tensor_kernel_scan_innermost_dimIN3c107complexIfEESt10multipliesIS4_EEEvPT_PKS7_jjjS7_T0_.has_recursion, 0
	.set _ZN2at6native32tensor_kernel_scan_innermost_dimIN3c107complexIfEESt10multipliesIS4_EEEvPT_PKS7_jjjS7_T0_.has_indirect_call, 0
	.section	.AMDGPU.csdata,"",@progbits
; Kernel info:
; codeLenInByte = 1940
; TotalNumSgprs: 39
; NumVgprs: 23
; ScratchSize: 0
; MemoryBound: 0
; FloatMode: 240
; IeeeMode: 1
; LDSByteSize: 0 bytes/workgroup (compile time only)
; SGPRBlocks: 4
; VGPRBlocks: 5
; NumSGPRsForWavesPerEU: 39
; NumVGPRsForWavesPerEU: 23
; Occupancy: 10
; WaveLimiterHint : 0
; COMPUTE_PGM_RSRC2:SCRATCH_EN: 0
; COMPUTE_PGM_RSRC2:USER_SGPR: 6
; COMPUTE_PGM_RSRC2:TRAP_HANDLER: 0
; COMPUTE_PGM_RSRC2:TGID_X_EN: 1
; COMPUTE_PGM_RSRC2:TGID_Y_EN: 0
; COMPUTE_PGM_RSRC2:TGID_Z_EN: 0
; COMPUTE_PGM_RSRC2:TIDIG_COMP_CNT: 1
	.section	.text._ZN2at6native28tensor_kernel_scan_outer_dimIN3c107complexIfEEjSt10multipliesIS4_EEEvPT_PKS7_jjjS7_T1_,"axG",@progbits,_ZN2at6native28tensor_kernel_scan_outer_dimIN3c107complexIfEEjSt10multipliesIS4_EEEvPT_PKS7_jjjS7_T1_,comdat
	.protected	_ZN2at6native28tensor_kernel_scan_outer_dimIN3c107complexIfEEjSt10multipliesIS4_EEEvPT_PKS7_jjjS7_T1_ ; -- Begin function _ZN2at6native28tensor_kernel_scan_outer_dimIN3c107complexIfEEjSt10multipliesIS4_EEEvPT_PKS7_jjjS7_T1_
	.globl	_ZN2at6native28tensor_kernel_scan_outer_dimIN3c107complexIfEEjSt10multipliesIS4_EEEvPT_PKS7_jjjS7_T1_
	.p2align	8
	.type	_ZN2at6native28tensor_kernel_scan_outer_dimIN3c107complexIfEEjSt10multipliesIS4_EEEvPT_PKS7_jjjS7_T1_,@function
_ZN2at6native28tensor_kernel_scan_outer_dimIN3c107complexIfEEjSt10multipliesIS4_EEEvPT_PKS7_jjjS7_T1_: ; @_ZN2at6native28tensor_kernel_scan_outer_dimIN3c107complexIfEEjSt10multipliesIS4_EEEvPT_PKS7_jjjS7_T1_
; %bb.0:
	s_load_dwordx4 s[8:11], s[4:5], 0x10
	s_waitcnt lgkmcnt(0)
	s_cmp_ge_u32 s6, s8
	s_cbranch_scc1 .LBB79_9
; %bb.1:
	s_load_dword s11, s[4:5], 0x30
	s_load_dword s0, s[4:5], 0x3c
	s_load_dwordx4 s[12:15], s[4:5], 0x0
	s_load_dwordx2 s[16:17], s[4:5], 0x20
	s_add_u32 s18, s4, 48
	s_addc_u32 s19, s5, 0
	s_waitcnt lgkmcnt(0)
	s_and_b32 s30, s0, 0xffff
	s_cmp_lg_u32 s10, 0
	s_mul_i32 s7, s7, s30
	s_cselect_b64 s[2:3], -1, 0
	s_mul_i32 s4, s6, s10
	v_add_u32_e32 v2, s7, v0
	s_mov_b32 s21, 0
	s_mov_b32 s20, s9
	s_mul_i32 s4, s4, s9
	s_mul_i32 s7, s11, s10
	v_cndmask_b32_e64 v0, 0, 1, s[2:3]
	v_cmp_gt_u32_e64 s[0:1], s9, v2
	s_mul_i32 s7, s7, s9
	s_lshl_b64 s[22:23], s[20:21], 3
	v_cmp_ne_u32_e64 s[2:3], 1, v0
	v_mov_b32_e32 v1, 0
	s_mov_b32 s20, s4
	s_branch .LBB79_3
.LBB79_2:                               ;   in Loop: Header=BB79_3 Depth=1
	s_or_b64 exec, exec, s[24:25]
	s_add_i32 s6, s11, s6
	s_add_i32 s20, s20, s7
	s_cmp_ge_u32 s6, s8
	s_cbranch_scc1 .LBB79_9
.LBB79_3:                               ; =>This Loop Header: Depth=1
                                        ;     Child Loop BB79_6 Depth 2
                                        ;       Child Loop BB79_8 Depth 3
	s_and_saveexec_b64 s[24:25], s[0:1]
	s_cbranch_execz .LBB79_2
; %bb.4:                                ;   in Loop: Header=BB79_3 Depth=1
	s_load_dword s31, s[18:19], 0x4
	s_lshl_b64 s[26:27], s[20:21], 3
	s_mov_b64 s[28:29], 0
	v_mov_b32_e32 v0, v2
	s_waitcnt lgkmcnt(0)
	s_mul_i32 s31, s31, s30
	s_branch .LBB79_6
.LBB79_5:                               ;   in Loop: Header=BB79_6 Depth=2
	v_add_u32_e32 v0, s31, v0
	v_cmp_le_u32_e32 vcc, s9, v0
	s_or_b64 s[28:29], vcc, s[28:29]
	s_andn2_b64 exec, exec, s[28:29]
	s_cbranch_execz .LBB79_2
.LBB79_6:                               ;   Parent Loop BB79_3 Depth=1
                                        ; =>  This Loop Header: Depth=2
                                        ;       Child Loop BB79_8 Depth 3
	s_and_b64 vcc, exec, s[2:3]
	s_cbranch_vccnz .LBB79_5
; %bb.7:                                ;   in Loop: Header=BB79_6 Depth=2
	v_lshlrev_b64 v[3:4], 3, v[0:1]
	v_mov_b32_e32 v5, s27
	v_add_co_u32_e32 v3, vcc, s26, v3
	v_addc_co_u32_e32 v4, vcc, v5, v4, vcc
	v_mov_b32_e32 v5, s17
	v_mov_b32_e32 v6, s16
	s_mov_b32 s33, s10
.LBB79_8:                               ;   Parent Loop BB79_3 Depth=1
                                        ;     Parent Loop BB79_6 Depth=2
                                        ; =>    This Inner Loop Header: Depth=3
	v_mov_b32_e32 v8, s15
	v_add_co_u32_e32 v7, vcc, s14, v3
	v_addc_co_u32_e32 v8, vcc, v8, v4, vcc
	global_load_dwordx2 v[7:8], v[7:8], off
	v_mov_b32_e32 v10, s13
	v_add_co_u32_e32 v9, vcc, s12, v3
	v_mov_b32_e32 v11, s23
	v_add_co_u32_e64 v3, s[4:5], s22, v3
	v_addc_co_u32_e32 v10, vcc, v10, v4, vcc
	v_addc_co_u32_e64 v4, vcc, v4, v11, s[4:5]
	s_add_i32 s33, s33, -1
	s_cmp_eq_u32 s33, 0
	s_waitcnt vmcnt(0)
	v_mul_f32_e32 v11, v5, v8
	v_mul_f32_e32 v12, v6, v8
	v_fma_f32 v11, v6, v7, -v11
	v_fmac_f32_e32 v12, v5, v7
	v_mov_b32_e32 v5, v12
	v_mov_b32_e32 v6, v11
	global_store_dwordx2 v[9:10], v[11:12], off
	s_cbranch_scc0 .LBB79_8
	s_branch .LBB79_5
.LBB79_9:
	s_endpgm
	.section	.rodata,"a",@progbits
	.p2align	6, 0x0
	.amdhsa_kernel _ZN2at6native28tensor_kernel_scan_outer_dimIN3c107complexIfEEjSt10multipliesIS4_EEEvPT_PKS7_jjjS7_T1_
		.amdhsa_group_segment_fixed_size 0
		.amdhsa_private_segment_fixed_size 0
		.amdhsa_kernarg_size 304
		.amdhsa_user_sgpr_count 6
		.amdhsa_user_sgpr_private_segment_buffer 1
		.amdhsa_user_sgpr_dispatch_ptr 0
		.amdhsa_user_sgpr_queue_ptr 0
		.amdhsa_user_sgpr_kernarg_segment_ptr 1
		.amdhsa_user_sgpr_dispatch_id 0
		.amdhsa_user_sgpr_flat_scratch_init 0
		.amdhsa_user_sgpr_private_segment_size 0
		.amdhsa_uses_dynamic_stack 0
		.amdhsa_system_sgpr_private_segment_wavefront_offset 0
		.amdhsa_system_sgpr_workgroup_id_x 1
		.amdhsa_system_sgpr_workgroup_id_y 1
		.amdhsa_system_sgpr_workgroup_id_z 0
		.amdhsa_system_sgpr_workgroup_info 0
		.amdhsa_system_vgpr_workitem_id 0
		.amdhsa_next_free_vgpr 13
		.amdhsa_next_free_sgpr 34
		.amdhsa_reserve_vcc 1
		.amdhsa_reserve_flat_scratch 0
		.amdhsa_float_round_mode_32 0
		.amdhsa_float_round_mode_16_64 0
		.amdhsa_float_denorm_mode_32 3
		.amdhsa_float_denorm_mode_16_64 3
		.amdhsa_dx10_clamp 1
		.amdhsa_ieee_mode 1
		.amdhsa_fp16_overflow 0
		.amdhsa_exception_fp_ieee_invalid_op 0
		.amdhsa_exception_fp_denorm_src 0
		.amdhsa_exception_fp_ieee_div_zero 0
		.amdhsa_exception_fp_ieee_overflow 0
		.amdhsa_exception_fp_ieee_underflow 0
		.amdhsa_exception_fp_ieee_inexact 0
		.amdhsa_exception_int_div_zero 0
	.end_amdhsa_kernel
	.section	.text._ZN2at6native28tensor_kernel_scan_outer_dimIN3c107complexIfEEjSt10multipliesIS4_EEEvPT_PKS7_jjjS7_T1_,"axG",@progbits,_ZN2at6native28tensor_kernel_scan_outer_dimIN3c107complexIfEEjSt10multipliesIS4_EEEvPT_PKS7_jjjS7_T1_,comdat
.Lfunc_end79:
	.size	_ZN2at6native28tensor_kernel_scan_outer_dimIN3c107complexIfEEjSt10multipliesIS4_EEEvPT_PKS7_jjjS7_T1_, .Lfunc_end79-_ZN2at6native28tensor_kernel_scan_outer_dimIN3c107complexIfEEjSt10multipliesIS4_EEEvPT_PKS7_jjjS7_T1_
                                        ; -- End function
	.set _ZN2at6native28tensor_kernel_scan_outer_dimIN3c107complexIfEEjSt10multipliesIS4_EEEvPT_PKS7_jjjS7_T1_.num_vgpr, 13
	.set _ZN2at6native28tensor_kernel_scan_outer_dimIN3c107complexIfEEjSt10multipliesIS4_EEEvPT_PKS7_jjjS7_T1_.num_agpr, 0
	.set _ZN2at6native28tensor_kernel_scan_outer_dimIN3c107complexIfEEjSt10multipliesIS4_EEEvPT_PKS7_jjjS7_T1_.numbered_sgpr, 34
	.set _ZN2at6native28tensor_kernel_scan_outer_dimIN3c107complexIfEEjSt10multipliesIS4_EEEvPT_PKS7_jjjS7_T1_.num_named_barrier, 0
	.set _ZN2at6native28tensor_kernel_scan_outer_dimIN3c107complexIfEEjSt10multipliesIS4_EEEvPT_PKS7_jjjS7_T1_.private_seg_size, 0
	.set _ZN2at6native28tensor_kernel_scan_outer_dimIN3c107complexIfEEjSt10multipliesIS4_EEEvPT_PKS7_jjjS7_T1_.uses_vcc, 1
	.set _ZN2at6native28tensor_kernel_scan_outer_dimIN3c107complexIfEEjSt10multipliesIS4_EEEvPT_PKS7_jjjS7_T1_.uses_flat_scratch, 0
	.set _ZN2at6native28tensor_kernel_scan_outer_dimIN3c107complexIfEEjSt10multipliesIS4_EEEvPT_PKS7_jjjS7_T1_.has_dyn_sized_stack, 0
	.set _ZN2at6native28tensor_kernel_scan_outer_dimIN3c107complexIfEEjSt10multipliesIS4_EEEvPT_PKS7_jjjS7_T1_.has_recursion, 0
	.set _ZN2at6native28tensor_kernel_scan_outer_dimIN3c107complexIfEEjSt10multipliesIS4_EEEvPT_PKS7_jjjS7_T1_.has_indirect_call, 0
	.section	.AMDGPU.csdata,"",@progbits
; Kernel info:
; codeLenInByte = 384
; TotalNumSgprs: 38
; NumVgprs: 13
; ScratchSize: 0
; MemoryBound: 0
; FloatMode: 240
; IeeeMode: 1
; LDSByteSize: 0 bytes/workgroup (compile time only)
; SGPRBlocks: 4
; VGPRBlocks: 3
; NumSGPRsForWavesPerEU: 38
; NumVGPRsForWavesPerEU: 13
; Occupancy: 10
; WaveLimiterHint : 0
; COMPUTE_PGM_RSRC2:SCRATCH_EN: 0
; COMPUTE_PGM_RSRC2:USER_SGPR: 6
; COMPUTE_PGM_RSRC2:TRAP_HANDLER: 0
; COMPUTE_PGM_RSRC2:TGID_X_EN: 1
; COMPUTE_PGM_RSRC2:TGID_Y_EN: 1
; COMPUTE_PGM_RSRC2:TGID_Z_EN: 0
; COMPUTE_PGM_RSRC2:TIDIG_COMP_CNT: 0
	.section	.text._ZN2at6native28tensor_kernel_scan_outer_dimIN3c107complexIfEEmSt10multipliesIS4_EEEvPT_PKS7_jjjS7_T1_,"axG",@progbits,_ZN2at6native28tensor_kernel_scan_outer_dimIN3c107complexIfEEmSt10multipliesIS4_EEEvPT_PKS7_jjjS7_T1_,comdat
	.protected	_ZN2at6native28tensor_kernel_scan_outer_dimIN3c107complexIfEEmSt10multipliesIS4_EEEvPT_PKS7_jjjS7_T1_ ; -- Begin function _ZN2at6native28tensor_kernel_scan_outer_dimIN3c107complexIfEEmSt10multipliesIS4_EEEvPT_PKS7_jjjS7_T1_
	.globl	_ZN2at6native28tensor_kernel_scan_outer_dimIN3c107complexIfEEmSt10multipliesIS4_EEEvPT_PKS7_jjjS7_T1_
	.p2align	8
	.type	_ZN2at6native28tensor_kernel_scan_outer_dimIN3c107complexIfEEmSt10multipliesIS4_EEEvPT_PKS7_jjjS7_T1_,@function
_ZN2at6native28tensor_kernel_scan_outer_dimIN3c107complexIfEEmSt10multipliesIS4_EEEvPT_PKS7_jjjS7_T1_: ; @_ZN2at6native28tensor_kernel_scan_outer_dimIN3c107complexIfEEmSt10multipliesIS4_EEEvPT_PKS7_jjjS7_T1_
; %bb.0:
	s_load_dwordx4 s[8:11], s[4:5], 0x10
	s_waitcnt lgkmcnt(0)
	s_cmp_ge_u32 s6, s8
	s_cbranch_scc1 .LBB80_9
; %bb.1:
	s_load_dword s11, s[4:5], 0x30
	s_load_dword s0, s[4:5], 0x3c
	s_load_dwordx4 s[12:15], s[4:5], 0x0
	s_load_dwordx2 s[16:17], s[4:5], 0x20
	s_add_u32 s18, s4, 48
	s_addc_u32 s19, s5, 0
	s_waitcnt lgkmcnt(0)
	s_and_b32 s28, s0, 0xffff
	s_cmp_lg_u32 s10, 0
	s_mul_i32 s7, s7, s28
	s_cselect_b64 s[4:5], -1, 0
	v_add_u32_e32 v2, s7, v0
	s_mov_b32 s3, 0
	s_mov_b32 s2, s9
	s_mul_hi_u32 s21, s10, s9
	s_mul_i32 s20, s10, s9
	v_cndmask_b32_e64 v0, 0, 1, s[4:5]
	v_cmp_gt_u32_e64 s[0:1], s9, v2
	s_lshl_b64 s[20:21], s[20:21], 3
	s_lshl_b64 s[22:23], s[2:3], 3
	v_cmp_ne_u32_e64 s[2:3], 1, v0
	v_mov_b32_e32 v1, 0
	s_branch .LBB80_3
.LBB80_2:                               ;   in Loop: Header=BB80_3 Depth=1
	s_or_b64 exec, exec, s[24:25]
	s_add_i32 s6, s6, s11
	s_cmp_ge_u32 s6, s8
	s_cbranch_scc1 .LBB80_9
.LBB80_3:                               ; =>This Loop Header: Depth=1
                                        ;     Child Loop BB80_6 Depth 2
                                        ;       Child Loop BB80_8 Depth 3
	s_and_saveexec_b64 s[24:25], s[0:1]
	s_cbranch_execz .LBB80_2
; %bb.4:                                ;   in Loop: Header=BB80_3 Depth=1
	s_load_dword s30, s[18:19], 0x4
	s_mul_i32 s4, s21, s6
	s_mul_hi_u32 s5, s20, s6
	s_mul_i32 s7, s20, s6
	s_add_i32 s29, s5, s4
	s_waitcnt lgkmcnt(0)
	s_mul_i32 s30, s30, s28
	s_mov_b64 s[26:27], 0
	v_mov_b32_e32 v0, v2
	s_branch .LBB80_6
.LBB80_5:                               ;   in Loop: Header=BB80_6 Depth=2
	v_add_u32_e32 v0, s30, v0
	v_cmp_le_u32_e32 vcc, s9, v0
	s_or_b64 s[26:27], vcc, s[26:27]
	s_andn2_b64 exec, exec, s[26:27]
	s_cbranch_execz .LBB80_2
.LBB80_6:                               ;   Parent Loop BB80_3 Depth=1
                                        ; =>  This Loop Header: Depth=2
                                        ;       Child Loop BB80_8 Depth 3
	s_and_b64 vcc, exec, s[2:3]
	s_cbranch_vccnz .LBB80_5
; %bb.7:                                ;   in Loop: Header=BB80_6 Depth=2
	v_lshlrev_b64 v[3:4], 3, v[0:1]
	v_mov_b32_e32 v5, s29
	v_add_co_u32_e32 v3, vcc, s7, v3
	v_addc_co_u32_e32 v4, vcc, v5, v4, vcc
	v_mov_b32_e32 v5, s17
	v_mov_b32_e32 v6, s16
	s_mov_b32 s31, s10
.LBB80_8:                               ;   Parent Loop BB80_3 Depth=1
                                        ;     Parent Loop BB80_6 Depth=2
                                        ; =>    This Inner Loop Header: Depth=3
	v_mov_b32_e32 v8, s15
	v_add_co_u32_e32 v7, vcc, s14, v3
	v_addc_co_u32_e32 v8, vcc, v8, v4, vcc
	global_load_dwordx2 v[7:8], v[7:8], off
	v_mov_b32_e32 v10, s13
	v_add_co_u32_e32 v9, vcc, s12, v3
	v_mov_b32_e32 v11, s23
	v_add_co_u32_e64 v3, s[4:5], s22, v3
	v_addc_co_u32_e32 v10, vcc, v10, v4, vcc
	v_addc_co_u32_e64 v4, vcc, v4, v11, s[4:5]
	s_add_i32 s31, s31, -1
	s_cmp_eq_u32 s31, 0
	s_waitcnt vmcnt(0)
	v_mul_f32_e32 v11, v5, v8
	v_mul_f32_e32 v12, v6, v8
	v_fma_f32 v11, v6, v7, -v11
	v_fmac_f32_e32 v12, v5, v7
	v_mov_b32_e32 v5, v12
	v_mov_b32_e32 v6, v11
	global_store_dwordx2 v[9:10], v[11:12], off
	s_cbranch_scc0 .LBB80_8
	s_branch .LBB80_5
.LBB80_9:
	s_endpgm
	.section	.rodata,"a",@progbits
	.p2align	6, 0x0
	.amdhsa_kernel _ZN2at6native28tensor_kernel_scan_outer_dimIN3c107complexIfEEmSt10multipliesIS4_EEEvPT_PKS7_jjjS7_T1_
		.amdhsa_group_segment_fixed_size 0
		.amdhsa_private_segment_fixed_size 0
		.amdhsa_kernarg_size 304
		.amdhsa_user_sgpr_count 6
		.amdhsa_user_sgpr_private_segment_buffer 1
		.amdhsa_user_sgpr_dispatch_ptr 0
		.amdhsa_user_sgpr_queue_ptr 0
		.amdhsa_user_sgpr_kernarg_segment_ptr 1
		.amdhsa_user_sgpr_dispatch_id 0
		.amdhsa_user_sgpr_flat_scratch_init 0
		.amdhsa_user_sgpr_private_segment_size 0
		.amdhsa_uses_dynamic_stack 0
		.amdhsa_system_sgpr_private_segment_wavefront_offset 0
		.amdhsa_system_sgpr_workgroup_id_x 1
		.amdhsa_system_sgpr_workgroup_id_y 1
		.amdhsa_system_sgpr_workgroup_id_z 0
		.amdhsa_system_sgpr_workgroup_info 0
		.amdhsa_system_vgpr_workitem_id 0
		.amdhsa_next_free_vgpr 13
		.amdhsa_next_free_sgpr 32
		.amdhsa_reserve_vcc 1
		.amdhsa_reserve_flat_scratch 0
		.amdhsa_float_round_mode_32 0
		.amdhsa_float_round_mode_16_64 0
		.amdhsa_float_denorm_mode_32 3
		.amdhsa_float_denorm_mode_16_64 3
		.amdhsa_dx10_clamp 1
		.amdhsa_ieee_mode 1
		.amdhsa_fp16_overflow 0
		.amdhsa_exception_fp_ieee_invalid_op 0
		.amdhsa_exception_fp_denorm_src 0
		.amdhsa_exception_fp_ieee_div_zero 0
		.amdhsa_exception_fp_ieee_overflow 0
		.amdhsa_exception_fp_ieee_underflow 0
		.amdhsa_exception_fp_ieee_inexact 0
		.amdhsa_exception_int_div_zero 0
	.end_amdhsa_kernel
	.section	.text._ZN2at6native28tensor_kernel_scan_outer_dimIN3c107complexIfEEmSt10multipliesIS4_EEEvPT_PKS7_jjjS7_T1_,"axG",@progbits,_ZN2at6native28tensor_kernel_scan_outer_dimIN3c107complexIfEEmSt10multipliesIS4_EEEvPT_PKS7_jjjS7_T1_,comdat
.Lfunc_end80:
	.size	_ZN2at6native28tensor_kernel_scan_outer_dimIN3c107complexIfEEmSt10multipliesIS4_EEEvPT_PKS7_jjjS7_T1_, .Lfunc_end80-_ZN2at6native28tensor_kernel_scan_outer_dimIN3c107complexIfEEmSt10multipliesIS4_EEEvPT_PKS7_jjjS7_T1_
                                        ; -- End function
	.set _ZN2at6native28tensor_kernel_scan_outer_dimIN3c107complexIfEEmSt10multipliesIS4_EEEvPT_PKS7_jjjS7_T1_.num_vgpr, 13
	.set _ZN2at6native28tensor_kernel_scan_outer_dimIN3c107complexIfEEmSt10multipliesIS4_EEEvPT_PKS7_jjjS7_T1_.num_agpr, 0
	.set _ZN2at6native28tensor_kernel_scan_outer_dimIN3c107complexIfEEmSt10multipliesIS4_EEEvPT_PKS7_jjjS7_T1_.numbered_sgpr, 32
	.set _ZN2at6native28tensor_kernel_scan_outer_dimIN3c107complexIfEEmSt10multipliesIS4_EEEvPT_PKS7_jjjS7_T1_.num_named_barrier, 0
	.set _ZN2at6native28tensor_kernel_scan_outer_dimIN3c107complexIfEEmSt10multipliesIS4_EEEvPT_PKS7_jjjS7_T1_.private_seg_size, 0
	.set _ZN2at6native28tensor_kernel_scan_outer_dimIN3c107complexIfEEmSt10multipliesIS4_EEEvPT_PKS7_jjjS7_T1_.uses_vcc, 1
	.set _ZN2at6native28tensor_kernel_scan_outer_dimIN3c107complexIfEEmSt10multipliesIS4_EEEvPT_PKS7_jjjS7_T1_.uses_flat_scratch, 0
	.set _ZN2at6native28tensor_kernel_scan_outer_dimIN3c107complexIfEEmSt10multipliesIS4_EEEvPT_PKS7_jjjS7_T1_.has_dyn_sized_stack, 0
	.set _ZN2at6native28tensor_kernel_scan_outer_dimIN3c107complexIfEEmSt10multipliesIS4_EEEvPT_PKS7_jjjS7_T1_.has_recursion, 0
	.set _ZN2at6native28tensor_kernel_scan_outer_dimIN3c107complexIfEEmSt10multipliesIS4_EEEvPT_PKS7_jjjS7_T1_.has_indirect_call, 0
	.section	.AMDGPU.csdata,"",@progbits
; Kernel info:
; codeLenInByte = 384
; TotalNumSgprs: 36
; NumVgprs: 13
; ScratchSize: 0
; MemoryBound: 0
; FloatMode: 240
; IeeeMode: 1
; LDSByteSize: 0 bytes/workgroup (compile time only)
; SGPRBlocks: 4
; VGPRBlocks: 3
; NumSGPRsForWavesPerEU: 36
; NumVGPRsForWavesPerEU: 13
; Occupancy: 10
; WaveLimiterHint : 0
; COMPUTE_PGM_RSRC2:SCRATCH_EN: 0
; COMPUTE_PGM_RSRC2:USER_SGPR: 6
; COMPUTE_PGM_RSRC2:TRAP_HANDLER: 0
; COMPUTE_PGM_RSRC2:TGID_X_EN: 1
; COMPUTE_PGM_RSRC2:TGID_Y_EN: 1
; COMPUTE_PGM_RSRC2:TGID_Z_EN: 0
; COMPUTE_PGM_RSRC2:TIDIG_COMP_CNT: 0
	.section	.text._ZN7rocprim17ROCPRIM_304000_NS6detail31init_lookback_scan_state_kernelINS1_19lookback_scan_stateIN3c104HalfELb1ELb1EEEEEvT_jjPNS7_10value_typeE,"axG",@progbits,_ZN7rocprim17ROCPRIM_304000_NS6detail31init_lookback_scan_state_kernelINS1_19lookback_scan_stateIN3c104HalfELb1ELb1EEEEEvT_jjPNS7_10value_typeE,comdat
	.protected	_ZN7rocprim17ROCPRIM_304000_NS6detail31init_lookback_scan_state_kernelINS1_19lookback_scan_stateIN3c104HalfELb1ELb1EEEEEvT_jjPNS7_10value_typeE ; -- Begin function _ZN7rocprim17ROCPRIM_304000_NS6detail31init_lookback_scan_state_kernelINS1_19lookback_scan_stateIN3c104HalfELb1ELb1EEEEEvT_jjPNS7_10value_typeE
	.globl	_ZN7rocprim17ROCPRIM_304000_NS6detail31init_lookback_scan_state_kernelINS1_19lookback_scan_stateIN3c104HalfELb1ELb1EEEEEvT_jjPNS7_10value_typeE
	.p2align	8
	.type	_ZN7rocprim17ROCPRIM_304000_NS6detail31init_lookback_scan_state_kernelINS1_19lookback_scan_stateIN3c104HalfELb1ELb1EEEEEvT_jjPNS7_10value_typeE,@function
_ZN7rocprim17ROCPRIM_304000_NS6detail31init_lookback_scan_state_kernelINS1_19lookback_scan_stateIN3c104HalfELb1ELb1EEEEEvT_jjPNS7_10value_typeE: ; @_ZN7rocprim17ROCPRIM_304000_NS6detail31init_lookback_scan_state_kernelINS1_19lookback_scan_stateIN3c104HalfELb1ELb1EEEEEvT_jjPNS7_10value_typeE
; %bb.0:
	s_load_dword s7, s[4:5], 0x24
	s_load_dwordx2 s[8:9], s[4:5], 0x10
	s_load_dwordx4 s[0:3], s[4:5], 0x0
	s_waitcnt lgkmcnt(0)
	s_and_b32 s4, s7, 0xffff
	s_mul_i32 s6, s6, s4
	s_cmp_eq_u64 s[8:9], 0
	v_add_u32_e32 v0, s6, v0
	s_cbranch_scc1 .LBB81_9
; %bb.1:
	s_cmp_lt_u32 s3, s2
	s_cselect_b32 s4, s3, 0
	s_mov_b32 s7, 0
	v_cmp_eq_u32_e32 vcc, s4, v0
	s_and_saveexec_b64 s[4:5], vcc
	s_cbranch_execz .LBB81_8
; %bb.2:
	s_add_i32 s6, s3, 64
	s_lshl_b64 s[6:7], s[6:7], 2
	s_add_u32 s6, s0, s6
	s_addc_u32 s7, s1, s7
	v_mov_b32_e32 v1, 0
	global_load_dword v2, v1, s[6:7] glc
	s_waitcnt vmcnt(0)
	v_and_b32_e32 v3, 0xff0000, v2
	v_cmp_ne_u32_e32 vcc, 0, v3
	s_cbranch_vccnz .LBB81_7
; %bb.3:
	s_mov_b32 s3, 1
.LBB81_4:                               ; =>This Loop Header: Depth=1
                                        ;     Child Loop BB81_5 Depth 2
	s_mov_b32 s10, s3
.LBB81_5:                               ;   Parent Loop BB81_4 Depth=1
                                        ; =>  This Inner Loop Header: Depth=2
	s_add_i32 s10, s10, -1
	s_cmp_eq_u32 s10, 0
	s_sleep 1
	s_cbranch_scc0 .LBB81_5
; %bb.6:                                ;   in Loop: Header=BB81_4 Depth=1
	global_load_dword v2, v1, s[6:7] glc
	s_cmp_lt_u32 s3, 32
	s_cselect_b64 s[10:11], -1, 0
	s_cmp_lg_u64 s[10:11], 0
	s_addc_u32 s3, s3, 0
	s_waitcnt vmcnt(0)
	v_and_b32_e32 v3, 0xff0000, v2
	v_cmp_ne_u32_e32 vcc, 0, v3
	s_cbranch_vccz .LBB81_4
.LBB81_7:
	v_mov_b32_e32 v1, 0
	global_store_short v1, v2, s[8:9]
.LBB81_8:
	s_or_b64 exec, exec, s[4:5]
.LBB81_9:
	v_cmp_gt_u32_e32 vcc, s2, v0
	s_and_saveexec_b64 s[2:3], vcc
	s_cbranch_execnz .LBB81_12
; %bb.10:
	s_or_b64 exec, exec, s[2:3]
	v_cmp_gt_u32_e32 vcc, 64, v0
	s_and_saveexec_b64 s[2:3], vcc
	s_cbranch_execnz .LBB81_13
.LBB81_11:
	s_endpgm
.LBB81_12:
	v_add_u32_e32 v1, 64, v0
	v_mov_b32_e32 v2, 0
	v_lshlrev_b64 v[3:4], 2, v[1:2]
	v_mov_b32_e32 v1, s1
	v_add_co_u32_e32 v3, vcc, s0, v3
	v_addc_co_u32_e32 v4, vcc, v1, v4, vcc
	global_store_dword v[3:4], v2, off
	s_or_b64 exec, exec, s[2:3]
	v_cmp_gt_u32_e32 vcc, 64, v0
	s_and_saveexec_b64 s[2:3], vcc
	s_cbranch_execz .LBB81_11
.LBB81_13:
	v_mov_b32_e32 v1, 0
	v_lshlrev_b64 v[0:1], 2, v[0:1]
	v_mov_b32_e32 v2, s1
	v_add_co_u32_e32 v0, vcc, s0, v0
	v_addc_co_u32_e32 v1, vcc, v2, v1, vcc
	v_mov_b32_e32 v2, 0xff0000
	global_store_dword v[0:1], v2, off
	s_endpgm
	.section	.rodata,"a",@progbits
	.p2align	6, 0x0
	.amdhsa_kernel _ZN7rocprim17ROCPRIM_304000_NS6detail31init_lookback_scan_state_kernelINS1_19lookback_scan_stateIN3c104HalfELb1ELb1EEEEEvT_jjPNS7_10value_typeE
		.amdhsa_group_segment_fixed_size 0
		.amdhsa_private_segment_fixed_size 0
		.amdhsa_kernarg_size 280
		.amdhsa_user_sgpr_count 6
		.amdhsa_user_sgpr_private_segment_buffer 1
		.amdhsa_user_sgpr_dispatch_ptr 0
		.amdhsa_user_sgpr_queue_ptr 0
		.amdhsa_user_sgpr_kernarg_segment_ptr 1
		.amdhsa_user_sgpr_dispatch_id 0
		.amdhsa_user_sgpr_flat_scratch_init 0
		.amdhsa_user_sgpr_private_segment_size 0
		.amdhsa_uses_dynamic_stack 0
		.amdhsa_system_sgpr_private_segment_wavefront_offset 0
		.amdhsa_system_sgpr_workgroup_id_x 1
		.amdhsa_system_sgpr_workgroup_id_y 0
		.amdhsa_system_sgpr_workgroup_id_z 0
		.amdhsa_system_sgpr_workgroup_info 0
		.amdhsa_system_vgpr_workitem_id 0
		.amdhsa_next_free_vgpr 5
		.amdhsa_next_free_sgpr 12
		.amdhsa_reserve_vcc 1
		.amdhsa_reserve_flat_scratch 0
		.amdhsa_float_round_mode_32 0
		.amdhsa_float_round_mode_16_64 0
		.amdhsa_float_denorm_mode_32 3
		.amdhsa_float_denorm_mode_16_64 3
		.amdhsa_dx10_clamp 1
		.amdhsa_ieee_mode 1
		.amdhsa_fp16_overflow 0
		.amdhsa_exception_fp_ieee_invalid_op 0
		.amdhsa_exception_fp_denorm_src 0
		.amdhsa_exception_fp_ieee_div_zero 0
		.amdhsa_exception_fp_ieee_overflow 0
		.amdhsa_exception_fp_ieee_underflow 0
		.amdhsa_exception_fp_ieee_inexact 0
		.amdhsa_exception_int_div_zero 0
	.end_amdhsa_kernel
	.section	.text._ZN7rocprim17ROCPRIM_304000_NS6detail31init_lookback_scan_state_kernelINS1_19lookback_scan_stateIN3c104HalfELb1ELb1EEEEEvT_jjPNS7_10value_typeE,"axG",@progbits,_ZN7rocprim17ROCPRIM_304000_NS6detail31init_lookback_scan_state_kernelINS1_19lookback_scan_stateIN3c104HalfELb1ELb1EEEEEvT_jjPNS7_10value_typeE,comdat
.Lfunc_end81:
	.size	_ZN7rocprim17ROCPRIM_304000_NS6detail31init_lookback_scan_state_kernelINS1_19lookback_scan_stateIN3c104HalfELb1ELb1EEEEEvT_jjPNS7_10value_typeE, .Lfunc_end81-_ZN7rocprim17ROCPRIM_304000_NS6detail31init_lookback_scan_state_kernelINS1_19lookback_scan_stateIN3c104HalfELb1ELb1EEEEEvT_jjPNS7_10value_typeE
                                        ; -- End function
	.set _ZN7rocprim17ROCPRIM_304000_NS6detail31init_lookback_scan_state_kernelINS1_19lookback_scan_stateIN3c104HalfELb1ELb1EEEEEvT_jjPNS7_10value_typeE.num_vgpr, 5
	.set _ZN7rocprim17ROCPRIM_304000_NS6detail31init_lookback_scan_state_kernelINS1_19lookback_scan_stateIN3c104HalfELb1ELb1EEEEEvT_jjPNS7_10value_typeE.num_agpr, 0
	.set _ZN7rocprim17ROCPRIM_304000_NS6detail31init_lookback_scan_state_kernelINS1_19lookback_scan_stateIN3c104HalfELb1ELb1EEEEEvT_jjPNS7_10value_typeE.numbered_sgpr, 12
	.set _ZN7rocprim17ROCPRIM_304000_NS6detail31init_lookback_scan_state_kernelINS1_19lookback_scan_stateIN3c104HalfELb1ELb1EEEEEvT_jjPNS7_10value_typeE.num_named_barrier, 0
	.set _ZN7rocprim17ROCPRIM_304000_NS6detail31init_lookback_scan_state_kernelINS1_19lookback_scan_stateIN3c104HalfELb1ELb1EEEEEvT_jjPNS7_10value_typeE.private_seg_size, 0
	.set _ZN7rocprim17ROCPRIM_304000_NS6detail31init_lookback_scan_state_kernelINS1_19lookback_scan_stateIN3c104HalfELb1ELb1EEEEEvT_jjPNS7_10value_typeE.uses_vcc, 1
	.set _ZN7rocprim17ROCPRIM_304000_NS6detail31init_lookback_scan_state_kernelINS1_19lookback_scan_stateIN3c104HalfELb1ELb1EEEEEvT_jjPNS7_10value_typeE.uses_flat_scratch, 0
	.set _ZN7rocprim17ROCPRIM_304000_NS6detail31init_lookback_scan_state_kernelINS1_19lookback_scan_stateIN3c104HalfELb1ELb1EEEEEvT_jjPNS7_10value_typeE.has_dyn_sized_stack, 0
	.set _ZN7rocprim17ROCPRIM_304000_NS6detail31init_lookback_scan_state_kernelINS1_19lookback_scan_stateIN3c104HalfELb1ELb1EEEEEvT_jjPNS7_10value_typeE.has_recursion, 0
	.set _ZN7rocprim17ROCPRIM_304000_NS6detail31init_lookback_scan_state_kernelINS1_19lookback_scan_stateIN3c104HalfELb1ELb1EEEEEvT_jjPNS7_10value_typeE.has_indirect_call, 0
	.section	.AMDGPU.csdata,"",@progbits
; Kernel info:
; codeLenInByte = 336
; TotalNumSgprs: 16
; NumVgprs: 5
; ScratchSize: 0
; MemoryBound: 0
; FloatMode: 240
; IeeeMode: 1
; LDSByteSize: 0 bytes/workgroup (compile time only)
; SGPRBlocks: 1
; VGPRBlocks: 1
; NumSGPRsForWavesPerEU: 16
; NumVGPRsForWavesPerEU: 5
; Occupancy: 10
; WaveLimiterHint : 0
; COMPUTE_PGM_RSRC2:SCRATCH_EN: 0
; COMPUTE_PGM_RSRC2:USER_SGPR: 6
; COMPUTE_PGM_RSRC2:TRAP_HANDLER: 0
; COMPUTE_PGM_RSRC2:TGID_X_EN: 1
; COMPUTE_PGM_RSRC2:TGID_Y_EN: 0
; COMPUTE_PGM_RSRC2:TGID_Z_EN: 0
; COMPUTE_PGM_RSRC2:TIDIG_COMP_CNT: 0
	.section	.text._ZN7rocprim17ROCPRIM_304000_NS6detail31init_lookback_scan_state_kernelINS1_19lookback_scan_stateIN3c104HalfELb0ELb1EEEEEvT_jjPNS7_10value_typeE,"axG",@progbits,_ZN7rocprim17ROCPRIM_304000_NS6detail31init_lookback_scan_state_kernelINS1_19lookback_scan_stateIN3c104HalfELb0ELb1EEEEEvT_jjPNS7_10value_typeE,comdat
	.protected	_ZN7rocprim17ROCPRIM_304000_NS6detail31init_lookback_scan_state_kernelINS1_19lookback_scan_stateIN3c104HalfELb0ELb1EEEEEvT_jjPNS7_10value_typeE ; -- Begin function _ZN7rocprim17ROCPRIM_304000_NS6detail31init_lookback_scan_state_kernelINS1_19lookback_scan_stateIN3c104HalfELb0ELb1EEEEEvT_jjPNS7_10value_typeE
	.globl	_ZN7rocprim17ROCPRIM_304000_NS6detail31init_lookback_scan_state_kernelINS1_19lookback_scan_stateIN3c104HalfELb0ELb1EEEEEvT_jjPNS7_10value_typeE
	.p2align	8
	.type	_ZN7rocprim17ROCPRIM_304000_NS6detail31init_lookback_scan_state_kernelINS1_19lookback_scan_stateIN3c104HalfELb0ELb1EEEEEvT_jjPNS7_10value_typeE,@function
_ZN7rocprim17ROCPRIM_304000_NS6detail31init_lookback_scan_state_kernelINS1_19lookback_scan_stateIN3c104HalfELb0ELb1EEEEEvT_jjPNS7_10value_typeE: ; @_ZN7rocprim17ROCPRIM_304000_NS6detail31init_lookback_scan_state_kernelINS1_19lookback_scan_stateIN3c104HalfELb0ELb1EEEEEvT_jjPNS7_10value_typeE
; %bb.0:
	s_load_dword s7, s[4:5], 0x24
	s_load_dwordx2 s[8:9], s[4:5], 0x10
	s_load_dwordx4 s[0:3], s[4:5], 0x0
	s_waitcnt lgkmcnt(0)
	s_and_b32 s4, s7, 0xffff
	s_mul_i32 s6, s6, s4
	s_cmp_eq_u64 s[8:9], 0
	v_add_u32_e32 v0, s6, v0
	s_cbranch_scc1 .LBB82_6
; %bb.1:
	s_cmp_lt_u32 s3, s2
	s_cselect_b32 s4, s3, 0
	s_mov_b32 s7, 0
	v_cmp_eq_u32_e32 vcc, s4, v0
	s_and_saveexec_b64 s[4:5], vcc
	s_cbranch_execz .LBB82_5
; %bb.2:
	s_add_i32 s6, s3, 64
	s_lshl_b64 s[6:7], s[6:7], 2
	s_add_u32 s6, s0, s6
	s_addc_u32 s7, s1, s7
	v_mov_b32_e32 v2, 0
	global_load_dword v1, v2, s[6:7] glc
	s_waitcnt vmcnt(0)
	v_and_b32_e32 v3, 0xff0000, v1
	v_cmp_ne_u32_e32 vcc, 0, v3
	s_cbranch_vccnz .LBB82_4
.LBB82_3:                               ; =>This Inner Loop Header: Depth=1
	global_load_dword v1, v2, s[6:7] glc
	s_waitcnt vmcnt(0)
	v_and_b32_e32 v3, 0xff0000, v1
	v_cmp_eq_u32_e32 vcc, 0, v3
	s_cbranch_vccnz .LBB82_3
.LBB82_4:
	v_mov_b32_e32 v2, 0
	global_store_short v2, v1, s[8:9]
.LBB82_5:
	s_or_b64 exec, exec, s[4:5]
.LBB82_6:
	v_cmp_gt_u32_e32 vcc, s2, v0
	s_and_saveexec_b64 s[2:3], vcc
	s_cbranch_execnz .LBB82_9
; %bb.7:
	s_or_b64 exec, exec, s[2:3]
	v_cmp_gt_u32_e32 vcc, 64, v0
	s_and_saveexec_b64 s[2:3], vcc
	s_cbranch_execnz .LBB82_10
.LBB82_8:
	s_endpgm
.LBB82_9:
	v_add_u32_e32 v1, 64, v0
	v_mov_b32_e32 v2, 0
	v_lshlrev_b64 v[3:4], 2, v[1:2]
	v_mov_b32_e32 v1, s1
	v_add_co_u32_e32 v3, vcc, s0, v3
	v_addc_co_u32_e32 v4, vcc, v1, v4, vcc
	global_store_dword v[3:4], v2, off
	s_or_b64 exec, exec, s[2:3]
	v_cmp_gt_u32_e32 vcc, 64, v0
	s_and_saveexec_b64 s[2:3], vcc
	s_cbranch_execz .LBB82_8
.LBB82_10:
	v_mov_b32_e32 v1, 0
	v_lshlrev_b64 v[0:1], 2, v[0:1]
	v_mov_b32_e32 v2, s1
	v_add_co_u32_e32 v0, vcc, s0, v0
	v_addc_co_u32_e32 v1, vcc, v2, v1, vcc
	v_mov_b32_e32 v2, 0xff0000
	global_store_dword v[0:1], v2, off
	s_endpgm
	.section	.rodata,"a",@progbits
	.p2align	6, 0x0
	.amdhsa_kernel _ZN7rocprim17ROCPRIM_304000_NS6detail31init_lookback_scan_state_kernelINS1_19lookback_scan_stateIN3c104HalfELb0ELb1EEEEEvT_jjPNS7_10value_typeE
		.amdhsa_group_segment_fixed_size 0
		.amdhsa_private_segment_fixed_size 0
		.amdhsa_kernarg_size 280
		.amdhsa_user_sgpr_count 6
		.amdhsa_user_sgpr_private_segment_buffer 1
		.amdhsa_user_sgpr_dispatch_ptr 0
		.amdhsa_user_sgpr_queue_ptr 0
		.amdhsa_user_sgpr_kernarg_segment_ptr 1
		.amdhsa_user_sgpr_dispatch_id 0
		.amdhsa_user_sgpr_flat_scratch_init 0
		.amdhsa_user_sgpr_private_segment_size 0
		.amdhsa_uses_dynamic_stack 0
		.amdhsa_system_sgpr_private_segment_wavefront_offset 0
		.amdhsa_system_sgpr_workgroup_id_x 1
		.amdhsa_system_sgpr_workgroup_id_y 0
		.amdhsa_system_sgpr_workgroup_id_z 0
		.amdhsa_system_sgpr_workgroup_info 0
		.amdhsa_system_vgpr_workitem_id 0
		.amdhsa_next_free_vgpr 5
		.amdhsa_next_free_sgpr 10
		.amdhsa_reserve_vcc 1
		.amdhsa_reserve_flat_scratch 0
		.amdhsa_float_round_mode_32 0
		.amdhsa_float_round_mode_16_64 0
		.amdhsa_float_denorm_mode_32 3
		.amdhsa_float_denorm_mode_16_64 3
		.amdhsa_dx10_clamp 1
		.amdhsa_ieee_mode 1
		.amdhsa_fp16_overflow 0
		.amdhsa_exception_fp_ieee_invalid_op 0
		.amdhsa_exception_fp_denorm_src 0
		.amdhsa_exception_fp_ieee_div_zero 0
		.amdhsa_exception_fp_ieee_overflow 0
		.amdhsa_exception_fp_ieee_underflow 0
		.amdhsa_exception_fp_ieee_inexact 0
		.amdhsa_exception_int_div_zero 0
	.end_amdhsa_kernel
	.section	.text._ZN7rocprim17ROCPRIM_304000_NS6detail31init_lookback_scan_state_kernelINS1_19lookback_scan_stateIN3c104HalfELb0ELb1EEEEEvT_jjPNS7_10value_typeE,"axG",@progbits,_ZN7rocprim17ROCPRIM_304000_NS6detail31init_lookback_scan_state_kernelINS1_19lookback_scan_stateIN3c104HalfELb0ELb1EEEEEvT_jjPNS7_10value_typeE,comdat
.Lfunc_end82:
	.size	_ZN7rocprim17ROCPRIM_304000_NS6detail31init_lookback_scan_state_kernelINS1_19lookback_scan_stateIN3c104HalfELb0ELb1EEEEEvT_jjPNS7_10value_typeE, .Lfunc_end82-_ZN7rocprim17ROCPRIM_304000_NS6detail31init_lookback_scan_state_kernelINS1_19lookback_scan_stateIN3c104HalfELb0ELb1EEEEEvT_jjPNS7_10value_typeE
                                        ; -- End function
	.set _ZN7rocprim17ROCPRIM_304000_NS6detail31init_lookback_scan_state_kernelINS1_19lookback_scan_stateIN3c104HalfELb0ELb1EEEEEvT_jjPNS7_10value_typeE.num_vgpr, 5
	.set _ZN7rocprim17ROCPRIM_304000_NS6detail31init_lookback_scan_state_kernelINS1_19lookback_scan_stateIN3c104HalfELb0ELb1EEEEEvT_jjPNS7_10value_typeE.num_agpr, 0
	.set _ZN7rocprim17ROCPRIM_304000_NS6detail31init_lookback_scan_state_kernelINS1_19lookback_scan_stateIN3c104HalfELb0ELb1EEEEEvT_jjPNS7_10value_typeE.numbered_sgpr, 10
	.set _ZN7rocprim17ROCPRIM_304000_NS6detail31init_lookback_scan_state_kernelINS1_19lookback_scan_stateIN3c104HalfELb0ELb1EEEEEvT_jjPNS7_10value_typeE.num_named_barrier, 0
	.set _ZN7rocprim17ROCPRIM_304000_NS6detail31init_lookback_scan_state_kernelINS1_19lookback_scan_stateIN3c104HalfELb0ELb1EEEEEvT_jjPNS7_10value_typeE.private_seg_size, 0
	.set _ZN7rocprim17ROCPRIM_304000_NS6detail31init_lookback_scan_state_kernelINS1_19lookback_scan_stateIN3c104HalfELb0ELb1EEEEEvT_jjPNS7_10value_typeE.uses_vcc, 1
	.set _ZN7rocprim17ROCPRIM_304000_NS6detail31init_lookback_scan_state_kernelINS1_19lookback_scan_stateIN3c104HalfELb0ELb1EEEEEvT_jjPNS7_10value_typeE.uses_flat_scratch, 0
	.set _ZN7rocprim17ROCPRIM_304000_NS6detail31init_lookback_scan_state_kernelINS1_19lookback_scan_stateIN3c104HalfELb0ELb1EEEEEvT_jjPNS7_10value_typeE.has_dyn_sized_stack, 0
	.set _ZN7rocprim17ROCPRIM_304000_NS6detail31init_lookback_scan_state_kernelINS1_19lookback_scan_stateIN3c104HalfELb0ELb1EEEEEvT_jjPNS7_10value_typeE.has_recursion, 0
	.set _ZN7rocprim17ROCPRIM_304000_NS6detail31init_lookback_scan_state_kernelINS1_19lookback_scan_stateIN3c104HalfELb0ELb1EEEEEvT_jjPNS7_10value_typeE.has_indirect_call, 0
	.section	.AMDGPU.csdata,"",@progbits
; Kernel info:
; codeLenInByte = 296
; TotalNumSgprs: 14
; NumVgprs: 5
; ScratchSize: 0
; MemoryBound: 0
; FloatMode: 240
; IeeeMode: 1
; LDSByteSize: 0 bytes/workgroup (compile time only)
; SGPRBlocks: 1
; VGPRBlocks: 1
; NumSGPRsForWavesPerEU: 14
; NumVGPRsForWavesPerEU: 5
; Occupancy: 10
; WaveLimiterHint : 0
; COMPUTE_PGM_RSRC2:SCRATCH_EN: 0
; COMPUTE_PGM_RSRC2:USER_SGPR: 6
; COMPUTE_PGM_RSRC2:TRAP_HANDLER: 0
; COMPUTE_PGM_RSRC2:TGID_X_EN: 1
; COMPUTE_PGM_RSRC2:TGID_Y_EN: 0
; COMPUTE_PGM_RSRC2:TGID_Z_EN: 0
; COMPUTE_PGM_RSRC2:TIDIG_COMP_CNT: 0
	.section	.text._ZN7rocprim17ROCPRIM_304000_NS6detail20lookback_scan_kernelILNS1_25lookback_scan_determinismE0ELb0ENS1_19wrapped_scan_configINS0_14default_configEN3c104HalfEEEPKS7_PS7_St10multipliesIS7_ES7_S7_NS1_19lookback_scan_stateIS7_Lb1ELb1EEEEEvT2_T3_mT5_T4_T7_jPT6_SM_bb,"axG",@progbits,_ZN7rocprim17ROCPRIM_304000_NS6detail20lookback_scan_kernelILNS1_25lookback_scan_determinismE0ELb0ENS1_19wrapped_scan_configINS0_14default_configEN3c104HalfEEEPKS7_PS7_St10multipliesIS7_ES7_S7_NS1_19lookback_scan_stateIS7_Lb1ELb1EEEEEvT2_T3_mT5_T4_T7_jPT6_SM_bb,comdat
	.protected	_ZN7rocprim17ROCPRIM_304000_NS6detail20lookback_scan_kernelILNS1_25lookback_scan_determinismE0ELb0ENS1_19wrapped_scan_configINS0_14default_configEN3c104HalfEEEPKS7_PS7_St10multipliesIS7_ES7_S7_NS1_19lookback_scan_stateIS7_Lb1ELb1EEEEEvT2_T3_mT5_T4_T7_jPT6_SM_bb ; -- Begin function _ZN7rocprim17ROCPRIM_304000_NS6detail20lookback_scan_kernelILNS1_25lookback_scan_determinismE0ELb0ENS1_19wrapped_scan_configINS0_14default_configEN3c104HalfEEEPKS7_PS7_St10multipliesIS7_ES7_S7_NS1_19lookback_scan_stateIS7_Lb1ELb1EEEEEvT2_T3_mT5_T4_T7_jPT6_SM_bb
	.globl	_ZN7rocprim17ROCPRIM_304000_NS6detail20lookback_scan_kernelILNS1_25lookback_scan_determinismE0ELb0ENS1_19wrapped_scan_configINS0_14default_configEN3c104HalfEEEPKS7_PS7_St10multipliesIS7_ES7_S7_NS1_19lookback_scan_stateIS7_Lb1ELb1EEEEEvT2_T3_mT5_T4_T7_jPT6_SM_bb
	.p2align	8
	.type	_ZN7rocprim17ROCPRIM_304000_NS6detail20lookback_scan_kernelILNS1_25lookback_scan_determinismE0ELb0ENS1_19wrapped_scan_configINS0_14default_configEN3c104HalfEEEPKS7_PS7_St10multipliesIS7_ES7_S7_NS1_19lookback_scan_stateIS7_Lb1ELb1EEEEEvT2_T3_mT5_T4_T7_jPT6_SM_bb,@function
_ZN7rocprim17ROCPRIM_304000_NS6detail20lookback_scan_kernelILNS1_25lookback_scan_determinismE0ELb0ENS1_19wrapped_scan_configINS0_14default_configEN3c104HalfEEEPKS7_PS7_St10multipliesIS7_ES7_S7_NS1_19lookback_scan_stateIS7_Lb1ELb1EEEEEvT2_T3_mT5_T4_T7_jPT6_SM_bb: ; @_ZN7rocprim17ROCPRIM_304000_NS6detail20lookback_scan_kernelILNS1_25lookback_scan_determinismE0ELb0ENS1_19wrapped_scan_configINS0_14default_configEN3c104HalfEEEPKS7_PS7_St10multipliesIS7_ES7_S7_NS1_19lookback_scan_stateIS7_Lb1ELb1EEEEEvT2_T3_mT5_T4_T7_jPT6_SM_bb
; %bb.0:
	s_endpgm
	.section	.rodata,"a",@progbits
	.p2align	6, 0x0
	.amdhsa_kernel _ZN7rocprim17ROCPRIM_304000_NS6detail20lookback_scan_kernelILNS1_25lookback_scan_determinismE0ELb0ENS1_19wrapped_scan_configINS0_14default_configEN3c104HalfEEEPKS7_PS7_St10multipliesIS7_ES7_S7_NS1_19lookback_scan_stateIS7_Lb1ELb1EEEEEvT2_T3_mT5_T4_T7_jPT6_SM_bb
		.amdhsa_group_segment_fixed_size 0
		.amdhsa_private_segment_fixed_size 0
		.amdhsa_kernarg_size 68
		.amdhsa_user_sgpr_count 6
		.amdhsa_user_sgpr_private_segment_buffer 1
		.amdhsa_user_sgpr_dispatch_ptr 0
		.amdhsa_user_sgpr_queue_ptr 0
		.amdhsa_user_sgpr_kernarg_segment_ptr 1
		.amdhsa_user_sgpr_dispatch_id 0
		.amdhsa_user_sgpr_flat_scratch_init 0
		.amdhsa_user_sgpr_private_segment_size 0
		.amdhsa_uses_dynamic_stack 0
		.amdhsa_system_sgpr_private_segment_wavefront_offset 0
		.amdhsa_system_sgpr_workgroup_id_x 1
		.amdhsa_system_sgpr_workgroup_id_y 0
		.amdhsa_system_sgpr_workgroup_id_z 0
		.amdhsa_system_sgpr_workgroup_info 0
		.amdhsa_system_vgpr_workitem_id 0
		.amdhsa_next_free_vgpr 1
		.amdhsa_next_free_sgpr 0
		.amdhsa_reserve_vcc 0
		.amdhsa_reserve_flat_scratch 0
		.amdhsa_float_round_mode_32 0
		.amdhsa_float_round_mode_16_64 0
		.amdhsa_float_denorm_mode_32 3
		.amdhsa_float_denorm_mode_16_64 3
		.amdhsa_dx10_clamp 1
		.amdhsa_ieee_mode 1
		.amdhsa_fp16_overflow 0
		.amdhsa_exception_fp_ieee_invalid_op 0
		.amdhsa_exception_fp_denorm_src 0
		.amdhsa_exception_fp_ieee_div_zero 0
		.amdhsa_exception_fp_ieee_overflow 0
		.amdhsa_exception_fp_ieee_underflow 0
		.amdhsa_exception_fp_ieee_inexact 0
		.amdhsa_exception_int_div_zero 0
	.end_amdhsa_kernel
	.section	.text._ZN7rocprim17ROCPRIM_304000_NS6detail20lookback_scan_kernelILNS1_25lookback_scan_determinismE0ELb0ENS1_19wrapped_scan_configINS0_14default_configEN3c104HalfEEEPKS7_PS7_St10multipliesIS7_ES7_S7_NS1_19lookback_scan_stateIS7_Lb1ELb1EEEEEvT2_T3_mT5_T4_T7_jPT6_SM_bb,"axG",@progbits,_ZN7rocprim17ROCPRIM_304000_NS6detail20lookback_scan_kernelILNS1_25lookback_scan_determinismE0ELb0ENS1_19wrapped_scan_configINS0_14default_configEN3c104HalfEEEPKS7_PS7_St10multipliesIS7_ES7_S7_NS1_19lookback_scan_stateIS7_Lb1ELb1EEEEEvT2_T3_mT5_T4_T7_jPT6_SM_bb,comdat
.Lfunc_end83:
	.size	_ZN7rocprim17ROCPRIM_304000_NS6detail20lookback_scan_kernelILNS1_25lookback_scan_determinismE0ELb0ENS1_19wrapped_scan_configINS0_14default_configEN3c104HalfEEEPKS7_PS7_St10multipliesIS7_ES7_S7_NS1_19lookback_scan_stateIS7_Lb1ELb1EEEEEvT2_T3_mT5_T4_T7_jPT6_SM_bb, .Lfunc_end83-_ZN7rocprim17ROCPRIM_304000_NS6detail20lookback_scan_kernelILNS1_25lookback_scan_determinismE0ELb0ENS1_19wrapped_scan_configINS0_14default_configEN3c104HalfEEEPKS7_PS7_St10multipliesIS7_ES7_S7_NS1_19lookback_scan_stateIS7_Lb1ELb1EEEEEvT2_T3_mT5_T4_T7_jPT6_SM_bb
                                        ; -- End function
	.set _ZN7rocprim17ROCPRIM_304000_NS6detail20lookback_scan_kernelILNS1_25lookback_scan_determinismE0ELb0ENS1_19wrapped_scan_configINS0_14default_configEN3c104HalfEEEPKS7_PS7_St10multipliesIS7_ES7_S7_NS1_19lookback_scan_stateIS7_Lb1ELb1EEEEEvT2_T3_mT5_T4_T7_jPT6_SM_bb.num_vgpr, 0
	.set _ZN7rocprim17ROCPRIM_304000_NS6detail20lookback_scan_kernelILNS1_25lookback_scan_determinismE0ELb0ENS1_19wrapped_scan_configINS0_14default_configEN3c104HalfEEEPKS7_PS7_St10multipliesIS7_ES7_S7_NS1_19lookback_scan_stateIS7_Lb1ELb1EEEEEvT2_T3_mT5_T4_T7_jPT6_SM_bb.num_agpr, 0
	.set _ZN7rocprim17ROCPRIM_304000_NS6detail20lookback_scan_kernelILNS1_25lookback_scan_determinismE0ELb0ENS1_19wrapped_scan_configINS0_14default_configEN3c104HalfEEEPKS7_PS7_St10multipliesIS7_ES7_S7_NS1_19lookback_scan_stateIS7_Lb1ELb1EEEEEvT2_T3_mT5_T4_T7_jPT6_SM_bb.numbered_sgpr, 0
	.set _ZN7rocprim17ROCPRIM_304000_NS6detail20lookback_scan_kernelILNS1_25lookback_scan_determinismE0ELb0ENS1_19wrapped_scan_configINS0_14default_configEN3c104HalfEEEPKS7_PS7_St10multipliesIS7_ES7_S7_NS1_19lookback_scan_stateIS7_Lb1ELb1EEEEEvT2_T3_mT5_T4_T7_jPT6_SM_bb.num_named_barrier, 0
	.set _ZN7rocprim17ROCPRIM_304000_NS6detail20lookback_scan_kernelILNS1_25lookback_scan_determinismE0ELb0ENS1_19wrapped_scan_configINS0_14default_configEN3c104HalfEEEPKS7_PS7_St10multipliesIS7_ES7_S7_NS1_19lookback_scan_stateIS7_Lb1ELb1EEEEEvT2_T3_mT5_T4_T7_jPT6_SM_bb.private_seg_size, 0
	.set _ZN7rocprim17ROCPRIM_304000_NS6detail20lookback_scan_kernelILNS1_25lookback_scan_determinismE0ELb0ENS1_19wrapped_scan_configINS0_14default_configEN3c104HalfEEEPKS7_PS7_St10multipliesIS7_ES7_S7_NS1_19lookback_scan_stateIS7_Lb1ELb1EEEEEvT2_T3_mT5_T4_T7_jPT6_SM_bb.uses_vcc, 0
	.set _ZN7rocprim17ROCPRIM_304000_NS6detail20lookback_scan_kernelILNS1_25lookback_scan_determinismE0ELb0ENS1_19wrapped_scan_configINS0_14default_configEN3c104HalfEEEPKS7_PS7_St10multipliesIS7_ES7_S7_NS1_19lookback_scan_stateIS7_Lb1ELb1EEEEEvT2_T3_mT5_T4_T7_jPT6_SM_bb.uses_flat_scratch, 0
	.set _ZN7rocprim17ROCPRIM_304000_NS6detail20lookback_scan_kernelILNS1_25lookback_scan_determinismE0ELb0ENS1_19wrapped_scan_configINS0_14default_configEN3c104HalfEEEPKS7_PS7_St10multipliesIS7_ES7_S7_NS1_19lookback_scan_stateIS7_Lb1ELb1EEEEEvT2_T3_mT5_T4_T7_jPT6_SM_bb.has_dyn_sized_stack, 0
	.set _ZN7rocprim17ROCPRIM_304000_NS6detail20lookback_scan_kernelILNS1_25lookback_scan_determinismE0ELb0ENS1_19wrapped_scan_configINS0_14default_configEN3c104HalfEEEPKS7_PS7_St10multipliesIS7_ES7_S7_NS1_19lookback_scan_stateIS7_Lb1ELb1EEEEEvT2_T3_mT5_T4_T7_jPT6_SM_bb.has_recursion, 0
	.set _ZN7rocprim17ROCPRIM_304000_NS6detail20lookback_scan_kernelILNS1_25lookback_scan_determinismE0ELb0ENS1_19wrapped_scan_configINS0_14default_configEN3c104HalfEEEPKS7_PS7_St10multipliesIS7_ES7_S7_NS1_19lookback_scan_stateIS7_Lb1ELb1EEEEEvT2_T3_mT5_T4_T7_jPT6_SM_bb.has_indirect_call, 0
	.section	.AMDGPU.csdata,"",@progbits
; Kernel info:
; codeLenInByte = 4
; TotalNumSgprs: 4
; NumVgprs: 0
; ScratchSize: 0
; MemoryBound: 0
; FloatMode: 240
; IeeeMode: 1
; LDSByteSize: 0 bytes/workgroup (compile time only)
; SGPRBlocks: 0
; VGPRBlocks: 0
; NumSGPRsForWavesPerEU: 4
; NumVGPRsForWavesPerEU: 1
; Occupancy: 10
; WaveLimiterHint : 0
; COMPUTE_PGM_RSRC2:SCRATCH_EN: 0
; COMPUTE_PGM_RSRC2:USER_SGPR: 6
; COMPUTE_PGM_RSRC2:TRAP_HANDLER: 0
; COMPUTE_PGM_RSRC2:TGID_X_EN: 1
; COMPUTE_PGM_RSRC2:TGID_Y_EN: 0
; COMPUTE_PGM_RSRC2:TGID_Z_EN: 0
; COMPUTE_PGM_RSRC2:TIDIG_COMP_CNT: 0
	.section	.text._ZN7rocprim17ROCPRIM_304000_NS6detail20lookback_scan_kernelILNS1_25lookback_scan_determinismE0ELb0ENS1_19wrapped_scan_configINS0_14default_configEN3c104HalfEEEPKS7_PS7_St10multipliesIS7_ES7_S7_NS1_19lookback_scan_stateIS7_Lb0ELb1EEEEEvT2_T3_mT5_T4_T7_jPT6_SM_bb,"axG",@progbits,_ZN7rocprim17ROCPRIM_304000_NS6detail20lookback_scan_kernelILNS1_25lookback_scan_determinismE0ELb0ENS1_19wrapped_scan_configINS0_14default_configEN3c104HalfEEEPKS7_PS7_St10multipliesIS7_ES7_S7_NS1_19lookback_scan_stateIS7_Lb0ELb1EEEEEvT2_T3_mT5_T4_T7_jPT6_SM_bb,comdat
	.protected	_ZN7rocprim17ROCPRIM_304000_NS6detail20lookback_scan_kernelILNS1_25lookback_scan_determinismE0ELb0ENS1_19wrapped_scan_configINS0_14default_configEN3c104HalfEEEPKS7_PS7_St10multipliesIS7_ES7_S7_NS1_19lookback_scan_stateIS7_Lb0ELb1EEEEEvT2_T3_mT5_T4_T7_jPT6_SM_bb ; -- Begin function _ZN7rocprim17ROCPRIM_304000_NS6detail20lookback_scan_kernelILNS1_25lookback_scan_determinismE0ELb0ENS1_19wrapped_scan_configINS0_14default_configEN3c104HalfEEEPKS7_PS7_St10multipliesIS7_ES7_S7_NS1_19lookback_scan_stateIS7_Lb0ELb1EEEEEvT2_T3_mT5_T4_T7_jPT6_SM_bb
	.globl	_ZN7rocprim17ROCPRIM_304000_NS6detail20lookback_scan_kernelILNS1_25lookback_scan_determinismE0ELb0ENS1_19wrapped_scan_configINS0_14default_configEN3c104HalfEEEPKS7_PS7_St10multipliesIS7_ES7_S7_NS1_19lookback_scan_stateIS7_Lb0ELb1EEEEEvT2_T3_mT5_T4_T7_jPT6_SM_bb
	.p2align	8
	.type	_ZN7rocprim17ROCPRIM_304000_NS6detail20lookback_scan_kernelILNS1_25lookback_scan_determinismE0ELb0ENS1_19wrapped_scan_configINS0_14default_configEN3c104HalfEEEPKS7_PS7_St10multipliesIS7_ES7_S7_NS1_19lookback_scan_stateIS7_Lb0ELb1EEEEEvT2_T3_mT5_T4_T7_jPT6_SM_bb,@function
_ZN7rocprim17ROCPRIM_304000_NS6detail20lookback_scan_kernelILNS1_25lookback_scan_determinismE0ELb0ENS1_19wrapped_scan_configINS0_14default_configEN3c104HalfEEEPKS7_PS7_St10multipliesIS7_ES7_S7_NS1_19lookback_scan_stateIS7_Lb0ELb1EEEEEvT2_T3_mT5_T4_T7_jPT6_SM_bb: ; @_ZN7rocprim17ROCPRIM_304000_NS6detail20lookback_scan_kernelILNS1_25lookback_scan_determinismE0ELb0ENS1_19wrapped_scan_configINS0_14default_configEN3c104HalfEEEPKS7_PS7_St10multipliesIS7_ES7_S7_NS1_19lookback_scan_stateIS7_Lb0ELb1EEEEEvT2_T3_mT5_T4_T7_jPT6_SM_bb
; %bb.0:
	s_load_dword s3, s[4:5], 0x28
	s_load_dwordx4 s[16:19], s[4:5], 0x0
	s_load_dwordx2 s[0:1], s[4:5], 0x10
	s_mul_i32 s2, s6, 0x1800
	v_lshlrev_b32_e32 v19, 1, v0
	s_waitcnt lgkmcnt(0)
	s_add_i32 s7, s3, -1
	s_mul_i32 s8, s7, 0x1800
	s_sub_u32 s28, s0, s8
	s_subb_u32 s29, s1, 0
	s_mov_b32 s3, 0
	s_cmp_lg_u32 s6, s7
	s_cselect_b64 s[20:21], -1, 0
	s_lshl_b64 s[22:23], s[2:3], 1
	s_add_u32 s2, s16, s22
	s_addc_u32 s3, s17, s23
	s_mov_b64 s[0:1], -1
	s_and_b64 vcc, exec, s[20:21]
	s_cbranch_vccz .LBB84_2
; %bb.1:
	v_mov_b32_e32 v1, s3
	v_add_co_u32_e32 v3, vcc, s2, v19
	v_addc_co_u32_e32 v4, vcc, 0, v1, vcc
	v_add_co_u32_e32 v1, vcc, 0x1000, v3
	v_addc_co_u32_e32 v2, vcc, 0, v4, vcc
	global_load_ushort v5, v19, s[2:3]
	global_load_ushort v6, v19, s[2:3] offset:512
	global_load_ushort v7, v19, s[2:3] offset:1024
	;; [unrolled: 1-line block ×7, first 2 shown]
	global_load_ushort v13, v[1:2], off
	global_load_ushort v14, v[1:2], off offset:512
	global_load_ushort v15, v[1:2], off offset:1024
	;; [unrolled: 1-line block ×7, first 2 shown]
	v_add_co_u32_e32 v1, vcc, 0x2000, v3
	v_addc_co_u32_e32 v2, vcc, 0, v4, vcc
	global_load_ushort v3, v[1:2], off
	global_load_ushort v4, v[1:2], off offset:512
	global_load_ushort v22, v[1:2], off offset:1024
	;; [unrolled: 1-line block ×7, first 2 shown]
	s_mov_b64 s[0:1], 0
	s_waitcnt vmcnt(23)
	ds_write_b16 v19, v5
	s_waitcnt vmcnt(22)
	ds_write_b16 v19, v6 offset:512
	s_waitcnt vmcnt(21)
	ds_write_b16 v19, v7 offset:1024
	;; [unrolled: 2-line block ×23, first 2 shown]
	s_waitcnt lgkmcnt(0)
	s_barrier
.LBB84_2:
	s_andn2_b64 vcc, exec, s[0:1]
	v_cmp_gt_u32_e64 s[0:1], s28, v0
	s_cbranch_vccnz .LBB84_52
; %bb.3:
	v_mov_b32_e32 v1, 0
	global_load_ushort v3, v1, s[2:3]
	v_mov_b32_e32 v2, s3
	v_add_co_u32_e32 v1, vcc, s2, v19
	v_addc_co_u32_e32 v2, vcc, 0, v2, vcc
	s_waitcnt vmcnt(0)
	v_mov_b32_e32 v4, v3
	s_and_saveexec_b64 s[2:3], s[0:1]
	s_cbranch_execz .LBB84_5
; %bb.4:
	global_load_ushort v4, v[1:2], off
.LBB84_5:
	s_or_b64 exec, exec, s[2:3]
	v_or_b32_e32 v5, 0x100, v0
	v_cmp_gt_u32_e32 vcc, s28, v5
	v_mov_b32_e32 v5, v3
	s_and_saveexec_b64 s[0:1], vcc
	s_cbranch_execz .LBB84_7
; %bb.6:
	global_load_ushort v5, v[1:2], off offset:512
.LBB84_7:
	s_or_b64 exec, exec, s[0:1]
	v_or_b32_e32 v6, 0x200, v0
	v_cmp_gt_u32_e32 vcc, s28, v6
	v_mov_b32_e32 v6, v3
	s_and_saveexec_b64 s[0:1], vcc
	s_cbranch_execz .LBB84_9
; %bb.8:
	global_load_ushort v6, v[1:2], off offset:1024
.LBB84_9:
	;; [unrolled: 9-line block ×7, first 2 shown]
	s_or_b64 exec, exec, s[0:1]
	v_or_b32_e32 v12, 0x800, v0
	v_cmp_gt_u32_e32 vcc, s28, v12
	v_mov_b32_e32 v12, v3
	s_and_saveexec_b64 s[0:1], vcc
	s_cbranch_execz .LBB84_21
; %bb.20:
	v_add_co_u32_e32 v12, vcc, 0x1000, v1
	v_addc_co_u32_e32 v13, vcc, 0, v2, vcc
	global_load_ushort v12, v[12:13], off
.LBB84_21:
	s_or_b64 exec, exec, s[0:1]
	v_or_b32_e32 v13, 0x900, v0
	v_cmp_gt_u32_e32 vcc, s28, v13
	v_mov_b32_e32 v13, v3
	s_and_saveexec_b64 s[0:1], vcc
	s_cbranch_execz .LBB84_23
; %bb.22:
	v_add_co_u32_e32 v13, vcc, 0x1000, v1
	v_addc_co_u32_e32 v14, vcc, 0, v2, vcc
	global_load_ushort v13, v[13:14], off offset:512
.LBB84_23:
	s_or_b64 exec, exec, s[0:1]
	v_or_b32_e32 v14, 0xa00, v0
	v_cmp_gt_u32_e32 vcc, s28, v14
	v_mov_b32_e32 v14, v3
	s_and_saveexec_b64 s[0:1], vcc
	s_cbranch_execz .LBB84_25
; %bb.24:
	v_add_co_u32_e32 v14, vcc, 0x1000, v1
	v_addc_co_u32_e32 v15, vcc, 0, v2, vcc
	global_load_ushort v14, v[14:15], off offset:1024
.LBB84_25:
	;; [unrolled: 11-line block ×7, first 2 shown]
	s_or_b64 exec, exec, s[0:1]
	v_or_b32_e32 v21, 0x1000, v0
	v_cmp_gt_u32_e32 vcc, s28, v21
	v_mov_b32_e32 v21, v3
	s_and_saveexec_b64 s[0:1], vcc
	s_cbranch_execz .LBB84_37
; %bb.36:
	v_add_co_u32_e32 v21, vcc, 0x2000, v1
	v_addc_co_u32_e32 v22, vcc, 0, v2, vcc
	global_load_ushort v21, v[21:22], off
.LBB84_37:
	s_or_b64 exec, exec, s[0:1]
	v_or_b32_e32 v22, 0x1100, v0
	v_cmp_gt_u32_e32 vcc, s28, v22
	v_mov_b32_e32 v22, v3
	s_and_saveexec_b64 s[0:1], vcc
	s_cbranch_execz .LBB84_39
; %bb.38:
	v_add_co_u32_e32 v22, vcc, 0x2000, v1
	v_addc_co_u32_e32 v23, vcc, 0, v2, vcc
	global_load_ushort v22, v[22:23], off offset:512
.LBB84_39:
	s_or_b64 exec, exec, s[0:1]
	v_or_b32_e32 v23, 0x1200, v0
	v_cmp_gt_u32_e32 vcc, s28, v23
	v_mov_b32_e32 v23, v3
	s_and_saveexec_b64 s[0:1], vcc
	s_cbranch_execz .LBB84_41
; %bb.40:
	v_add_co_u32_e32 v23, vcc, 0x2000, v1
	v_addc_co_u32_e32 v24, vcc, 0, v2, vcc
	global_load_ushort v23, v[23:24], off offset:1024
.LBB84_41:
	;; [unrolled: 11-line block ×6, first 2 shown]
	s_or_b64 exec, exec, s[0:1]
	v_or_b32_e32 v28, 0x1700, v0
	v_cmp_gt_u32_e32 vcc, s28, v28
	s_and_saveexec_b64 s[0:1], vcc
	s_cbranch_execz .LBB84_51
; %bb.50:
	v_add_co_u32_e32 v1, vcc, 0x2000, v1
	v_addc_co_u32_e32 v2, vcc, 0, v2, vcc
	global_load_ushort v3, v[1:2], off offset:3584
.LBB84_51:
	s_or_b64 exec, exec, s[0:1]
	s_waitcnt vmcnt(0)
	ds_write_b16 v19, v4
	ds_write_b16 v19, v5 offset:512
	ds_write_b16 v19, v6 offset:1024
	;; [unrolled: 1-line block ×23, first 2 shown]
	s_waitcnt lgkmcnt(0)
	s_barrier
.LBB84_52:
	v_mul_u32_u24_e32 v20, 48, v0
	ds_read_b128 v[9:12], v20
	ds_read_b128 v[5:8], v20 offset:16
	ds_read_b128 v[1:4], v20 offset:32
	s_load_dwordx2 s[16:17], s[4:5], 0x20
	s_cmp_lg_u32 s6, 0
	v_lshrrev_b32_e32 v21, 4, v0
	v_cmp_gt_u32_e32 vcc, 64, v0
	s_waitcnt lgkmcnt(0)
	s_barrier
	s_cbranch_scc0 .LBB84_76
; %bb.53:
	v_mul_f16_sdwa v13, v9, v9 dst_sel:DWORD dst_unused:UNUSED_PAD src0_sel:DWORD src1_sel:WORD_1
	v_mul_f16_e32 v13, v13, v10
	v_mul_f16_sdwa v13, v13, v10 dst_sel:DWORD dst_unused:UNUSED_PAD src0_sel:DWORD src1_sel:WORD_1
	v_mul_f16_e32 v13, v13, v11
	;; [unrolled: 2-line block ×11, first 2 shown]
	v_mul_f16_sdwa v22, v13, v4 dst_sel:DWORD dst_unused:UNUSED_PAD src0_sel:DWORD src1_sel:WORD_1
	v_and_b32_e32 v13, 14, v21
	v_lshl_add_u32 v13, v0, 1, v13
	ds_write_b16 v13, v22
	s_waitcnt lgkmcnt(0)
	s_barrier
	s_and_saveexec_b64 s[2:3], vcc
	s_cbranch_execz .LBB84_55
; %bb.54:
	v_lshrrev_b32_e32 v13, 2, v0
	v_and_b32_e32 v13, 62, v13
	v_lshl_add_u32 v15, v0, 3, v13
	ds_read_b64 v[13:14], v15
	v_mbcnt_lo_u32_b32 v16, -1, 0
	v_mbcnt_hi_u32_b32 v16, -1, v16
	v_and_b32_e32 v17, 15, v16
	v_cmp_eq_u32_e64 s[0:1], 0, v17
	s_waitcnt lgkmcnt(0)
	v_mul_f16_sdwa v18, v13, v13 dst_sel:DWORD dst_unused:UNUSED_PAD src0_sel:DWORD src1_sel:WORD_1
	v_mul_f16_e32 v18, v18, v14
	v_mul_f16_sdwa v18, v18, v14 dst_sel:DWORD dst_unused:UNUSED_PAD src0_sel:DWORD src1_sel:WORD_1
	s_nop 1
	v_mov_b32_dpp v23, v18 row_shr:1 row_mask:0xf bank_mask:0xf
	v_mul_f16_e32 v23, v18, v23
	v_cndmask_b32_e64 v18, v23, v18, s[0:1]
	v_and_b32_e32 v23, 0xffff, v18
	v_cmp_lt_u32_e64 s[0:1], 1, v17
	s_nop 0
	v_mov_b32_dpp v23, v23 row_shr:2 row_mask:0xf bank_mask:0xf
	v_mul_f16_e32 v23, v18, v23
	v_cndmask_b32_e64 v18, v18, v23, s[0:1]
	v_and_b32_e32 v23, 0xffff, v18
	v_cmp_lt_u32_e64 s[0:1], 3, v17
	s_nop 0
	v_mov_b32_dpp v23, v23 row_shr:4 row_mask:0xf bank_mask:0xf
	v_mul_f16_e32 v23, v18, v23
	v_cndmask_b32_e64 v18, v18, v23, s[0:1]
	v_and_b32_e32 v23, 0xffff, v18
	v_cmp_lt_u32_e64 s[0:1], 7, v17
	s_nop 0
	v_mov_b32_dpp v23, v23 row_shr:8 row_mask:0xf bank_mask:0xf
	v_mul_f16_e32 v23, v18, v23
	v_cndmask_b32_e64 v17, v18, v23, s[0:1]
	v_and_b32_e32 v18, 0xffff, v17
	v_and_b32_e32 v23, 16, v16
	v_cmp_eq_u32_e64 s[0:1], 0, v23
	v_mov_b32_dpp v18, v18 row_bcast:15 row_mask:0xf bank_mask:0xf
	v_mul_f16_e32 v18, v17, v18
	v_cndmask_b32_e64 v17, v18, v17, s[0:1]
	v_and_b32_e32 v18, 0xffff, v17
	v_cmp_lt_u32_e64 s[0:1], 31, v16
	v_and_b32_e32 v23, 64, v16
	v_mov_b32_dpp v18, v18 row_bcast:31 row_mask:0xf bank_mask:0xf
	v_mul_f16_e32 v18, v17, v18
	v_cndmask_b32_e64 v17, v17, v18, s[0:1]
	v_add_u32_e32 v18, -1, v16
	v_cmp_lt_i32_e64 s[0:1], v18, v23
	v_cndmask_b32_e64 v16, v18, v16, s[0:1]
	v_lshlrev_b32_e32 v16, 2, v16
	v_and_b32_e32 v17, 0xffff, v17
	ds_bpermute_b32 v16, v16, v17
	v_cmp_eq_u32_e64 s[0:1], 0, v0
	s_waitcnt lgkmcnt(0)
	v_mul_f16_e32 v16, v13, v16
	v_cndmask_b32_e64 v16, v16, v22, s[0:1]
	v_mul_f16_sdwa v13, v13, v16 dst_sel:DWORD dst_unused:UNUSED_PAD src0_sel:WORD_1 src1_sel:DWORD
	v_mul_f16_e32 v17, v14, v13
	v_mul_f16_sdwa v14, v14, v17 dst_sel:DWORD dst_unused:UNUSED_PAD src0_sel:WORD_1 src1_sel:DWORD
	s_mov_b32 s0, 0x5040100
	v_perm_b32 v13, v13, v16, s0
	v_pack_b32_f16 v14, v17, v14
	ds_write_b64 v15, v[13:14]
.LBB84_55:
	s_or_b64 exec, exec, s[2:3]
	v_cmp_eq_u32_e64 s[0:1], 0, v0
	v_cmp_ne_u32_e64 s[2:3], 0, v0
	s_waitcnt lgkmcnt(0)
	s_barrier
	s_and_saveexec_b64 s[8:9], s[2:3]
; %bb.56:
	v_add_u32_e32 v13, -1, v0
	v_lshrrev_b32_e32 v14, 4, v13
	v_and_b32_e32 v14, 0xffffffe, v14
	v_lshl_add_u32 v13, v13, 1, v14
	ds_read_u16 v22, v13
; %bb.57:
	s_or_b64 exec, exec, s[8:9]
	s_and_saveexec_b64 s[24:25], vcc
	s_cbranch_execz .LBB84_81
; %bb.58:
	v_mov_b32_e32 v15, 0
	ds_read_u16 v23, v15 offset:524
	v_mbcnt_lo_u32_b32 v13, -1, 0
	v_mbcnt_hi_u32_b32 v37, -1, v13
	s_mov_b32 s11, 0
	v_cmp_eq_u32_e64 s[2:3], 0, v37
	s_and_saveexec_b64 s[8:9], s[2:3]
	s_cbranch_execz .LBB84_60
; %bb.59:
	s_add_i32 s10, s6, 64
	s_lshl_b64 s[10:11], s[10:11], 2
	s_add_u32 s10, s16, s10
	s_waitcnt lgkmcnt(0)
	v_or_b32_e32 v13, 0x10000, v23
	s_addc_u32 s11, s17, s11
	global_store_dword v15, v13, s[10:11]
.LBB84_60:
	s_or_b64 exec, exec, s[8:9]
	v_xad_u32 v13, v37, -1, s6
	v_add_u32_e32 v14, 64, v13
	v_lshlrev_b64 v[16:17], 2, v[14:15]
	v_mov_b32_e32 v14, s17
	v_add_co_u32_e32 v16, vcc, s16, v16
	v_addc_co_u32_e32 v17, vcc, v14, v17, vcc
	global_load_dword v18, v[16:17], off glc
	s_waitcnt vmcnt(0)
	v_lshrrev_b32_e32 v24, 16, v18
	v_cmp_eq_u16_sdwa s[10:11], v24, v15 src0_sel:BYTE_0 src1_sel:DWORD
	s_and_saveexec_b64 s[8:9], s[10:11]
	s_cbranch_execz .LBB84_64
; %bb.61:
	s_mov_b64 s[10:11], 0
	v_mov_b32_e32 v14, 0
.LBB84_62:                              ; =>This Inner Loop Header: Depth=1
	global_load_dword v18, v[16:17], off glc
	s_waitcnt vmcnt(0)
	v_lshrrev_b32_e32 v24, 16, v18
	v_cmp_ne_u16_sdwa s[12:13], v24, v14 src0_sel:BYTE_0 src1_sel:DWORD
	s_or_b64 s[10:11], s[12:13], s[10:11]
	s_andn2_b64 exec, exec, s[10:11]
	s_cbranch_execnz .LBB84_62
; %bb.63:
	s_or_b64 exec, exec, s[10:11]
.LBB84_64:
	s_or_b64 exec, exec, s[8:9]
	v_and_b32_e32 v34, 63, v37
	v_cmp_ne_u32_e32 vcc, 63, v34
	v_mov_b32_e32 v25, 2
	v_lshlrev_b64 v[15:16], v37, -1
	v_addc_co_u32_e32 v26, vcc, 0, v37, vcc
	v_cmp_eq_u16_sdwa s[8:9], v24, v25 src0_sel:BYTE_0 src1_sel:DWORD
	v_lshlrev_b32_e32 v26, 2, v26
	v_and_b32_e32 v28, 0xffff, v18
	v_and_b32_e32 v14, s9, v16
	ds_bpermute_b32 v29, v26, v28
	v_or_b32_e32 v14, 0x80000000, v14
	v_and_b32_e32 v17, s8, v15
	v_ffbl_b32_e32 v14, v14
	v_add_u32_e32 v14, 32, v14
	v_ffbl_b32_e32 v17, v17
	v_min_u32_e32 v44, v17, v14
	v_add_u32_e32 v27, 1, v37
	v_cmp_gt_u32_e32 vcc, 62, v34
	s_waitcnt lgkmcnt(0)
	v_mul_f16_e32 v14, v18, v29
	v_cmp_le_u32_e64 s[8:9], v27, v44
	v_cndmask_b32_e64 v17, 0, 2, vcc
	v_cndmask_b32_e64 v30, v28, v14, s[8:9]
	v_add_lshl_u32 v28, v17, v37, 2
	ds_bpermute_b32 v17, v28, v30
	v_add_u32_e32 v29, 2, v37
	v_cndmask_b32_e64 v32, v18, v14, s[8:9]
	v_cmp_le_u32_e32 vcc, v29, v44
	v_cmp_gt_u32_e64 s[10:11], 60, v34
	s_waitcnt lgkmcnt(0)
	v_mul_f16_e32 v17, v32, v17
	v_cndmask_b32_e32 v33, v30, v17, vcc
	v_cndmask_b32_e64 v30, 0, 4, s[10:11]
	v_add_lshl_u32 v30, v30, v37, 2
	ds_bpermute_b32 v35, v30, v33
	v_add_u32_e32 v31, 4, v37
	v_cndmask_b32_e32 v36, v32, v17, vcc
	v_cmp_gt_u32_e64 s[10:11], 56, v34
	v_cmp_le_u32_e64 s[14:15], v31, v44
	s_waitcnt lgkmcnt(0)
	v_mul_f16_e32 v39, v36, v35
	v_cndmask_b32_e64 v32, 0, 8, s[10:11]
	v_cndmask_b32_e64 v35, v33, v39, s[14:15]
	v_add_lshl_u32 v32, v32, v37, 2
	ds_bpermute_b32 v38, v32, v35
	v_add_u32_e32 v33, 8, v37
	v_cndmask_b32_e64 v36, v36, v39, s[14:15]
	v_cmp_gt_u32_e64 s[10:11], 48, v34
	s_or_b64 s[12:13], s[8:9], vcc
	s_waitcnt lgkmcnt(0)
	v_mul_f16_e32 v40, v36, v38
	v_cmp_le_u32_e64 s[8:9], v33, v44
	v_cndmask_b32_e64 v34, 0, 16, s[10:11]
	v_cndmask_b32_e64 v38, v35, v40, s[8:9]
	v_add_lshl_u32 v34, v34, v37, 2
	ds_bpermute_b32 v41, v34, v38
	s_or_b64 s[10:11], s[14:15], s[12:13]
	v_add_u32_e32 v35, 16, v37
	v_cndmask_b32_e64 v42, v36, v40, s[8:9]
	s_or_b64 s[12:13], s[8:9], s[10:11]
	s_waitcnt lgkmcnt(0)
	v_mul_f16_e32 v41, v42, v41
	v_cmp_le_u32_e64 s[10:11], v35, v44
	v_mov_b32_e32 v36, 0x80
	v_cndmask_b32_e64 v38, v38, v41, s[10:11]
	v_lshl_or_b32 v36, v37, 2, v36
	ds_bpermute_b32 v43, v36, v38
	v_add_u32_e32 v38, 32, v37
	s_or_b64 s[26:27], s[10:11], s[12:13]
	v_cmp_le_u32_e64 s[12:13], v38, v44
	s_or_b64 s[30:31], s[12:13], s[26:27]
	s_and_saveexec_b64 s[26:27], s[30:31]
	s_cbranch_execz .LBB84_66
; %bb.65:
	v_cndmask_b32_e32 v14, v14, v17, vcc
	v_cndmask_b32_e64 v14, v14, v39, s[14:15]
	v_cndmask_b32_e64 v18, v42, v41, s[10:11]
	;; [unrolled: 1-line block ×3, first 2 shown]
	s_waitcnt lgkmcnt(0)
	v_mul_f16_e32 v18, v18, v43
	v_cndmask_b32_e64 v14, v14, v41, s[10:11]
	v_cndmask_b32_e64 v18, v14, v18, s[12:13]
.LBB84_66:
	s_or_b64 exec, exec, s[26:27]
	v_mov_b32_e32 v14, 0
	s_branch .LBB84_69
.LBB84_67:                              ;   in Loop: Header=BB84_69 Depth=1
	s_or_b64 exec, exec, s[26:27]
	v_subrev_u32_e32 v13, 64, v13
	v_mul_f16_e32 v18, v39, v37
	s_mov_b64 s[8:9], 0
.LBB84_68:                              ;   in Loop: Header=BB84_69 Depth=1
	s_and_b64 vcc, exec, s[8:9]
	s_cbranch_vccnz .LBB84_77
.LBB84_69:                              ; =>This Loop Header: Depth=1
                                        ;     Child Loop BB84_72 Depth 2
	v_cmp_ne_u16_sdwa s[8:9], v24, v25 src0_sel:BYTE_0 src1_sel:DWORD
	v_mov_b32_e32 v37, v18
	s_cmp_lg_u64 s[8:9], exec
	s_mov_b64 s[8:9], -1
                                        ; implicit-def: $vgpr18
                                        ; implicit-def: $vgpr24
	s_cbranch_scc1 .LBB84_68
; %bb.70:                               ;   in Loop: Header=BB84_69 Depth=1
	v_lshlrev_b64 v[17:18], 2, v[13:14]
	v_mov_b32_e32 v24, s17
	v_add_co_u32_e32 v17, vcc, s16, v17
	v_addc_co_u32_e32 v18, vcc, v24, v18, vcc
	global_load_dword v39, v[17:18], off glc
	s_waitcnt vmcnt(0)
	v_lshrrev_b32_e32 v24, 16, v39
	v_cmp_eq_u16_sdwa s[10:11], v24, v14 src0_sel:BYTE_0 src1_sel:DWORD
	s_and_saveexec_b64 s[8:9], s[10:11]
	s_cbranch_execz .LBB84_74
; %bb.71:                               ;   in Loop: Header=BB84_69 Depth=1
	s_mov_b64 s[10:11], 0
.LBB84_72:                              ;   Parent Loop BB84_69 Depth=1
                                        ; =>  This Inner Loop Header: Depth=2
	global_load_dword v39, v[17:18], off glc
	s_waitcnt vmcnt(0)
	v_lshrrev_b32_e32 v24, 16, v39
	v_cmp_ne_u16_sdwa s[12:13], v24, v14 src0_sel:BYTE_0 src1_sel:DWORD
	s_or_b64 s[10:11], s[12:13], s[10:11]
	s_andn2_b64 exec, exec, s[10:11]
	s_cbranch_execnz .LBB84_72
; %bb.73:                               ;   in Loop: Header=BB84_69 Depth=1
	s_or_b64 exec, exec, s[10:11]
.LBB84_74:                              ;   in Loop: Header=BB84_69 Depth=1
	s_or_b64 exec, exec, s[8:9]
	v_cmp_eq_u16_sdwa s[8:9], v24, v25 src0_sel:BYTE_0 src1_sel:DWORD
	v_and_b32_e32 v40, 0xffff, v39
	v_and_b32_e32 v17, s9, v16
	ds_bpermute_b32 v41, v26, v40
	v_or_b32_e32 v17, 0x80000000, v17
	v_and_b32_e32 v18, s8, v15
	v_ffbl_b32_e32 v17, v17
	v_add_u32_e32 v17, 32, v17
	v_ffbl_b32_e32 v18, v18
	v_min_u32_e32 v45, v18, v17
	s_waitcnt lgkmcnt(0)
	v_mul_f16_e32 v17, v39, v41
	v_cmp_le_u32_e64 s[10:11], v27, v45
	v_cndmask_b32_e64 v40, v40, v17, s[10:11]
	ds_bpermute_b32 v18, v28, v40
	v_cndmask_b32_e64 v41, v39, v17, s[10:11]
	v_cmp_le_u32_e32 vcc, v29, v45
	v_cmp_le_u32_e64 s[14:15], v31, v45
	v_cmp_le_u32_e64 s[8:9], v33, v45
	s_waitcnt lgkmcnt(0)
	v_mul_f16_e32 v18, v41, v18
	v_cndmask_b32_e32 v42, v40, v18, vcc
	ds_bpermute_b32 v40, v30, v42
	v_cndmask_b32_e32 v41, v41, v18, vcc
	s_or_b64 s[10:11], s[10:11], vcc
	s_or_b64 s[12:13], s[14:15], s[10:11]
	v_cmp_le_u32_e64 s[10:11], v35, v45
	s_waitcnt lgkmcnt(0)
	v_mul_f16_e32 v40, v41, v40
	v_cndmask_b32_e64 v42, v42, v40, s[14:15]
	ds_bpermute_b32 v43, v32, v42
	v_cndmask_b32_e64 v44, v41, v40, s[14:15]
	s_or_b64 s[12:13], s[8:9], s[12:13]
	s_or_b64 s[26:27], s[10:11], s[12:13]
	v_cmp_le_u32_e64 s[12:13], v38, v45
	s_waitcnt lgkmcnt(0)
	v_mul_f16_e32 v41, v44, v43
	v_cndmask_b32_e64 v46, v42, v41, s[8:9]
	ds_bpermute_b32 v42, v34, v46
	v_cndmask_b32_e64 v43, v44, v41, s[8:9]
	s_or_b64 s[30:31], s[12:13], s[26:27]
	s_waitcnt lgkmcnt(0)
	v_mul_f16_e32 v42, v43, v42
	v_cndmask_b32_e64 v44, v46, v42, s[10:11]
	ds_bpermute_b32 v44, v36, v44
	s_and_saveexec_b64 s[26:27], s[30:31]
	s_cbranch_execz .LBB84_67
; %bb.75:                               ;   in Loop: Header=BB84_69 Depth=1
	v_cndmask_b32_e32 v17, v17, v18, vcc
	v_cndmask_b32_e64 v17, v17, v40, s[14:15]
	v_cndmask_b32_e64 v39, v43, v42, s[10:11]
	;; [unrolled: 1-line block ×3, first 2 shown]
	s_waitcnt lgkmcnt(0)
	v_mul_f16_e32 v39, v39, v44
	v_cndmask_b32_e64 v17, v17, v42, s[10:11]
	v_cndmask_b32_e64 v39, v17, v39, s[12:13]
	s_branch .LBB84_67
.LBB84_76:
                                        ; implicit-def: $vgpr13
                                        ; implicit-def: $vgpr14
                                        ; implicit-def: $vgpr15
                                        ; implicit-def: $vgpr16
                                        ; implicit-def: $vgpr17
                                        ; implicit-def: $vgpr18
                                        ; implicit-def: $vgpr23
                                        ; implicit-def: $vgpr25
                                        ; implicit-def: $vgpr22
                                        ; implicit-def: $vgpr24
                                        ; implicit-def: $vgpr26
                                        ; implicit-def: $vgpr27
                                        ; implicit-def: $vgpr28
                                        ; implicit-def: $vgpr29
                                        ; implicit-def: $vgpr31
                                        ; implicit-def: $vgpr33
                                        ; implicit-def: $vgpr30
                                        ; implicit-def: $vgpr32
                                        ; implicit-def: $vgpr34
                                        ; implicit-def: $vgpr35
                                        ; implicit-def: $vgpr36
                                        ; implicit-def: $vgpr37
                                        ; implicit-def: $vgpr38
                                        ; implicit-def: $vgpr39
	s_load_dwordx4 s[8:11], s[4:5], 0x30
	s_cbranch_execnz .LBB84_82
	s_branch .LBB84_91
.LBB84_77:
	s_and_saveexec_b64 s[8:9], s[2:3]
	s_cbranch_execz .LBB84_79
; %bb.78:
	s_add_i32 s2, s6, 64
	s_mov_b32 s3, 0
	s_lshl_b64 s[2:3], s[2:3], 2
	v_mul_f16_e32 v13, v23, v37
	s_add_u32 s2, s16, s2
	v_or_b32_e32 v13, 0x20000, v13
	s_addc_u32 s3, s17, s3
	v_mov_b32_e32 v14, 0
	global_store_dword v14, v13, s[2:3]
.LBB84_79:
	s_or_b64 exec, exec, s[8:9]
	s_and_b64 exec, exec, s[0:1]
; %bb.80:
	v_mov_b32_e32 v13, 0
	ds_write_b16 v13, v37
.LBB84_81:
	s_or_b64 exec, exec, s[24:25]
	v_mov_b32_e32 v13, 0
	s_waitcnt vmcnt(0) lgkmcnt(0)
	s_barrier
	ds_read_u16 v13, v13
	v_mul_f16_e32 v14, v22, v9
	v_cndmask_b32_e64 v14, v14, v9, s[0:1]
	s_waitcnt lgkmcnt(0)
	v_mul_f16_e32 v13, v14, v13
	v_mul_f16_sdwa v14, v13, v9 dst_sel:DWORD dst_unused:UNUSED_PAD src0_sel:DWORD src1_sel:WORD_1
	v_mul_f16_e32 v15, v14, v10
	v_mul_f16_sdwa v16, v15, v10 dst_sel:DWORD dst_unused:UNUSED_PAD src0_sel:DWORD src1_sel:WORD_1
	;; [unrolled: 2-line block ×12, first 2 shown]
	s_load_dwordx4 s[8:11], s[4:5], 0x30
	s_branch .LBB84_91
.LBB84_82:
	s_load_dword s2, s[4:5], 0x40
	v_cmp_eq_u32_e32 vcc, 0, v0
	v_cmp_ne_u32_e64 s[0:1], 0, v0
	v_mov_b32_e32 v13, v9
	s_waitcnt lgkmcnt(0)
	s_bitcmp1_b32 s2, 0
	s_cselect_b64 s[2:3], -1, 0
	s_and_b64 s[6:7], vcc, s[2:3]
	s_and_saveexec_b64 s[2:3], s[6:7]
	s_cbranch_execz .LBB84_84
; %bb.83:
	v_mov_b32_e32 v13, 0
	global_load_ushort v13, v13, s[8:9]
	s_waitcnt vmcnt(0)
	v_mul_f16_e32 v13, v13, v9
.LBB84_84:
	s_or_b64 exec, exec, s[2:3]
	v_mul_f16_sdwa v14, v9, v13 dst_sel:DWORD dst_unused:UNUSED_PAD src0_sel:WORD_1 src1_sel:DWORD
	v_mul_f16_e32 v15, v14, v10
	v_mul_f16_sdwa v16, v15, v10 dst_sel:DWORD dst_unused:UNUSED_PAD src0_sel:DWORD src1_sel:WORD_1
	v_mul_f16_e32 v17, v16, v11
	v_mul_f16_sdwa v18, v17, v11 dst_sel:DWORD dst_unused:UNUSED_PAD src0_sel:DWORD src1_sel:WORD_1
	;; [unrolled: 2-line block ×10, first 2 shown]
	v_mul_f16_e32 v38, v37, v4
	v_and_b32_e32 v21, 14, v21
	v_mul_f16_sdwa v39, v38, v4 dst_sel:DWORD dst_unused:UNUSED_PAD src0_sel:DWORD src1_sel:WORD_1
	v_lshl_add_u32 v21, v0, 1, v21
	v_cmp_gt_u32_e64 s[2:3], 64, v0
	ds_write_b16 v21, v39
	s_waitcnt lgkmcnt(0)
	s_barrier
	s_and_saveexec_b64 s[6:7], s[2:3]
	s_cbranch_execz .LBB84_86
; %bb.85:
	v_lshrrev_b32_e32 v21, 2, v0
	v_and_b32_e32 v21, 62, v21
	v_lshl_add_u32 v21, v0, 3, v21
	ds_read_b64 v[40:41], v21
	v_mbcnt_lo_u32_b32 v42, -1, 0
	v_mbcnt_hi_u32_b32 v42, -1, v42
	v_and_b32_e32 v43, 15, v42
	v_cmp_eq_u32_e64 s[2:3], 0, v43
	s_waitcnt lgkmcnt(0)
	v_mul_f16_sdwa v44, v40, v40 dst_sel:DWORD dst_unused:UNUSED_PAD src0_sel:DWORD src1_sel:WORD_1
	v_mul_f16_e32 v44, v44, v41
	v_mul_f16_sdwa v44, v44, v41 dst_sel:DWORD dst_unused:UNUSED_PAD src0_sel:DWORD src1_sel:WORD_1
	s_nop 1
	v_mov_b32_dpp v45, v44 row_shr:1 row_mask:0xf bank_mask:0xf
	v_mul_f16_e32 v45, v44, v45
	v_cndmask_b32_e64 v44, v45, v44, s[2:3]
	v_and_b32_e32 v45, 0xffff, v44
	v_cmp_lt_u32_e64 s[2:3], 1, v43
	s_nop 0
	v_mov_b32_dpp v45, v45 row_shr:2 row_mask:0xf bank_mask:0xf
	v_mul_f16_e32 v45, v44, v45
	v_cndmask_b32_e64 v44, v44, v45, s[2:3]
	v_and_b32_e32 v45, 0xffff, v44
	v_cmp_lt_u32_e64 s[2:3], 3, v43
	s_nop 0
	v_mov_b32_dpp v45, v45 row_shr:4 row_mask:0xf bank_mask:0xf
	v_mul_f16_e32 v45, v44, v45
	v_cndmask_b32_e64 v44, v44, v45, s[2:3]
	v_and_b32_e32 v45, 0xffff, v44
	v_cmp_lt_u32_e64 s[2:3], 7, v43
	s_nop 0
	v_mov_b32_dpp v45, v45 row_shr:8 row_mask:0xf bank_mask:0xf
	v_mul_f16_e32 v45, v44, v45
	v_cndmask_b32_e64 v43, v44, v45, s[2:3]
	v_and_b32_e32 v44, 0xffff, v43
	v_and_b32_e32 v45, 16, v42
	v_cmp_eq_u32_e64 s[2:3], 0, v45
	v_mov_b32_dpp v44, v44 row_bcast:15 row_mask:0xf bank_mask:0xf
	v_mul_f16_e32 v44, v43, v44
	v_cndmask_b32_e64 v43, v44, v43, s[2:3]
	v_and_b32_e32 v44, 0xffff, v43
	v_cmp_lt_u32_e64 s[2:3], 31, v42
	v_and_b32_e32 v45, 64, v42
	v_mov_b32_dpp v44, v44 row_bcast:31 row_mask:0xf bank_mask:0xf
	v_mul_f16_e32 v44, v43, v44
	v_cndmask_b32_e64 v43, v43, v44, s[2:3]
	v_add_u32_e32 v44, -1, v42
	v_cmp_lt_i32_e64 s[2:3], v44, v45
	v_cndmask_b32_e64 v42, v44, v42, s[2:3]
	v_lshlrev_b32_e32 v42, 2, v42
	v_and_b32_e32 v43, 0xffff, v43
	ds_bpermute_b32 v42, v42, v43
	s_mov_b32 s2, 0x5040100
	s_waitcnt lgkmcnt(0)
	v_mul_f16_e32 v42, v40, v42
	v_cndmask_b32_e32 v42, v42, v39, vcc
	v_mul_f16_sdwa v40, v40, v42 dst_sel:DWORD dst_unused:UNUSED_PAD src0_sel:WORD_1 src1_sel:DWORD
	v_mul_f16_e32 v43, v41, v40
	v_mul_f16_sdwa v41, v41, v43 dst_sel:DWORD dst_unused:UNUSED_PAD src0_sel:WORD_1 src1_sel:DWORD
	v_perm_b32 v40, v40, v42, s2
	v_pack_b32_f16 v41, v43, v41
	ds_write_b64 v21, v[40:41]
.LBB84_86:
	s_or_b64 exec, exec, s[6:7]
	s_waitcnt lgkmcnt(0)
	s_barrier
	s_and_saveexec_b64 s[2:3], s[0:1]
	s_cbranch_execz .LBB84_88
; %bb.87:
	v_add_u32_e32 v14, -1, v0
	v_lshrrev_b32_e32 v15, 4, v14
	v_and_b32_e32 v15, 0xffffffe, v15
	v_lshl_add_u32 v14, v14, 1, v15
	ds_read_u16 v14, v14
	s_waitcnt lgkmcnt(0)
	v_mul_f16_e32 v13, v14, v13
	v_mul_f16_sdwa v14, v13, v9 dst_sel:DWORD dst_unused:UNUSED_PAD src0_sel:DWORD src1_sel:WORD_1
	v_mul_f16_e32 v15, v14, v10
	v_mul_f16_sdwa v16, v15, v10 dst_sel:DWORD dst_unused:UNUSED_PAD src0_sel:DWORD src1_sel:WORD_1
	;; [unrolled: 2-line block ×12, first 2 shown]
.LBB84_88:
	s_or_b64 exec, exec, s[2:3]
	s_and_saveexec_b64 s[0:1], vcc
	s_cbranch_execz .LBB84_90
; %bb.89:
	v_mov_b32_e32 v1, 0
	ds_read_u16 v2, v1 offset:524
	s_waitcnt lgkmcnt(0)
	v_or_b32_e32 v2, 0x20000, v2
	global_store_dword v1, v2, s[16:17] offset:256
.LBB84_90:
	s_or_b64 exec, exec, s[0:1]
.LBB84_91:
	s_add_u32 s0, s18, s22
	s_addc_u32 s1, s19, s23
	s_mov_b64 s[2:3], -1
	s_and_b64 vcc, exec, s[20:21]
	s_waitcnt vmcnt(0) lgkmcnt(0)
	s_barrier
	s_cbranch_vccz .LBB84_93
; %bb.92:
	s_mov_b32 s2, 0x5040100
	v_perm_b32 v4, v25, v23, s2
	v_perm_b32 v3, v18, v17, s2
	;; [unrolled: 1-line block ×4, first 2 shown]
	ds_write_b128 v20, v[1:4]
	v_perm_b32 v4, v33, v31, s2
	v_perm_b32 v3, v29, v28, s2
	;; [unrolled: 1-line block ×4, first 2 shown]
	ds_write_b128 v20, v[1:4] offset:16
	v_perm_b32 v4, v39, v38, s2
	v_perm_b32 v3, v37, v36, s2
	;; [unrolled: 1-line block ×4, first 2 shown]
	v_mov_b32_e32 v43, s1
	v_add_co_u32_e32 v44, vcc, s0, v19
	ds_write_b128 v20, v[1:4] offset:32
	s_waitcnt lgkmcnt(0)
	s_barrier
	ds_read_u16 v1, v19
	ds_read_u16 v2, v19 offset:512
	ds_read_u16 v3, v19 offset:1024
	;; [unrolled: 1-line block ×15, first 2 shown]
	v_addc_co_u32_e32 v43, vcc, 0, v43, vcc
	s_movk_i32 s2, 0x1000
	s_waitcnt lgkmcnt(14)
	global_store_short v19, v1, s[0:1]
	global_store_short v19, v2, s[0:1] offset:512
	s_waitcnt lgkmcnt(13)
	global_store_short v19, v3, s[0:1] offset:1024
	s_waitcnt lgkmcnt(12)
	;; [unrolled: 2-line block ×6, first 2 shown]
	global_store_short v19, v8, s[0:1] offset:3584
	v_add_co_u32_e32 v1, vcc, s2, v44
	v_addc_co_u32_e32 v2, vcc, 0, v43, vcc
	s_waitcnt lgkmcnt(7)
	global_store_short v[1:2], v9, off
	s_waitcnt lgkmcnt(6)
	global_store_short v[1:2], v10, off offset:512
	ds_read_u16 v3, v19 offset:8192
	ds_read_u16 v4, v19 offset:8704
	;; [unrolled: 1-line block ×8, first 2 shown]
	s_waitcnt lgkmcnt(13)
	global_store_short v[1:2], v11, off offset:1024
	s_waitcnt lgkmcnt(12)
	global_store_short v[1:2], v12, off offset:1536
	;; [unrolled: 2-line block ×6, first 2 shown]
	v_add_co_u32_e32 v1, vcc, 0x2000, v44
	v_addc_co_u32_e32 v2, vcc, 0, v43, vcc
	s_waitcnt lgkmcnt(7)
	global_store_short v[1:2], v3, off
	s_waitcnt lgkmcnt(6)
	global_store_short v[1:2], v4, off offset:512
	s_waitcnt lgkmcnt(5)
	global_store_short v[1:2], v5, off offset:1024
	;; [unrolled: 2-line block ×7, first 2 shown]
	s_mov_b64 s[2:3], 0
.LBB84_93:
	s_andn2_b64 vcc, exec, s[2:3]
	s_cbranch_vccnz .LBB84_150
; %bb.94:
	s_mov_b32 s2, 0x5040100
	v_perm_b32 v4, v25, v23, s2
	v_perm_b32 v3, v18, v17, s2
	;; [unrolled: 1-line block ×4, first 2 shown]
	ds_write_b128 v20, v[1:4]
	v_perm_b32 v4, v33, v31, s2
	v_perm_b32 v3, v29, v28, s2
	;; [unrolled: 1-line block ×4, first 2 shown]
	ds_write_b128 v20, v[1:4] offset:16
	v_perm_b32 v4, v39, v38, s2
	v_perm_b32 v3, v37, v36, s2
	;; [unrolled: 1-line block ×4, first 2 shown]
	s_movk_i32 s2, 0xffd2
	ds_write_b128 v20, v[1:4] offset:32
	v_mad_i32_i24 v2, v0, s2, v20
	s_waitcnt vmcnt(0) lgkmcnt(0)
	s_barrier
	ds_read_u16 v5, v2
	ds_read_u16 v4, v2 offset:512
	ds_read_u16 v7, v2 offset:1024
	;; [unrolled: 1-line block ×23, first 2 shown]
	v_mov_b32_e32 v3, s1
	v_add_co_u32_e32 v2, vcc, s0, v19
	v_addc_co_u32_e32 v3, vcc, 0, v3, vcc
	v_mov_b32_e32 v1, 0
	v_cmp_gt_u32_e32 vcc, s28, v0
	s_and_saveexec_b64 s[0:1], vcc
	s_cbranch_execz .LBB84_96
; %bb.95:
	s_waitcnt lgkmcnt(14)
	global_store_short v[2:3], v5, off
.LBB84_96:
	s_or_b64 exec, exec, s[0:1]
	v_or_b32_e32 v19, 0x100, v0
	v_cmp_gt_u32_e32 vcc, s28, v19
	s_and_saveexec_b64 s[0:1], vcc
	s_cbranch_execz .LBB84_98
; %bb.97:
	s_waitcnt lgkmcnt(14)
	global_store_short v[2:3], v4, off offset:512
.LBB84_98:
	s_or_b64 exec, exec, s[0:1]
	v_or_b32_e32 v19, 0x200, v0
	v_cmp_gt_u32_e32 vcc, s28, v19
	s_and_saveexec_b64 s[0:1], vcc
	s_cbranch_execz .LBB84_100
; %bb.99:
	s_waitcnt lgkmcnt(14)
	global_store_short v[2:3], v7, off offset:1024
.LBB84_100:
	;; [unrolled: 9-line block ×7, first 2 shown]
	s_or_b64 exec, exec, s[0:1]
	v_or_b32_e32 v19, 0x800, v0
	v_cmp_gt_u32_e32 vcc, s28, v19
	s_and_saveexec_b64 s[0:1], vcc
	s_cbranch_execz .LBB84_112
; %bb.111:
	v_add_co_u32_e32 v29, vcc, 0x1000, v2
	v_addc_co_u32_e32 v30, vcc, 0, v3, vcc
	s_waitcnt lgkmcnt(14)
	global_store_short v[29:30], v18, off
.LBB84_112:
	s_or_b64 exec, exec, s[0:1]
	v_or_b32_e32 v19, 0x900, v0
	v_cmp_gt_u32_e32 vcc, s28, v19
	s_and_saveexec_b64 s[0:1], vcc
	s_cbranch_execz .LBB84_114
; %bb.113:
	v_add_co_u32_e32 v29, vcc, 0x1000, v2
	v_addc_co_u32_e32 v30, vcc, 0, v3, vcc
	s_waitcnt lgkmcnt(14)
	global_store_short v[29:30], v23, off offset:512
.LBB84_114:
	s_or_b64 exec, exec, s[0:1]
	v_or_b32_e32 v19, 0xa00, v0
	v_cmp_gt_u32_e32 vcc, s28, v19
	s_and_saveexec_b64 s[0:1], vcc
	s_cbranch_execz .LBB84_116
; %bb.115:
	v_add_co_u32_e32 v29, vcc, 0x1000, v2
	v_addc_co_u32_e32 v30, vcc, 0, v3, vcc
	s_waitcnt lgkmcnt(13)
	global_store_short v[29:30], v22, off offset:1024
.LBB84_116:
	;; [unrolled: 11-line block ×7, first 2 shown]
	s_or_b64 exec, exec, s[0:1]
	v_or_b32_e32 v19, 0x1000, v0
	v_cmp_gt_u32_e32 vcc, s28, v19
	s_and_saveexec_b64 s[0:1], vcc
	s_cbranch_execz .LBB84_128
; %bb.127:
	v_add_co_u32_e32 v29, vcc, 0x2000, v2
	v_addc_co_u32_e32 v30, vcc, 0, v3, vcc
	s_waitcnt lgkmcnt(7)
	global_store_short v[29:30], v24, off
.LBB84_128:
	s_or_b64 exec, exec, s[0:1]
	v_or_b32_e32 v19, 0x1100, v0
	v_cmp_gt_u32_e32 vcc, s28, v19
	s_and_saveexec_b64 s[0:1], vcc
	s_cbranch_execz .LBB84_130
; %bb.129:
	v_add_co_u32_e32 v29, vcc, 0x2000, v2
	v_addc_co_u32_e32 v30, vcc, 0, v3, vcc
	s_waitcnt lgkmcnt(6)
	global_store_short v[29:30], v26, off offset:512
.LBB84_130:
	s_or_b64 exec, exec, s[0:1]
	v_or_b32_e32 v19, 0x1200, v0
	v_cmp_gt_u32_e32 vcc, s28, v19
	s_and_saveexec_b64 s[0:1], vcc
	s_cbranch_execz .LBB84_132
; %bb.131:
	v_add_co_u32_e32 v29, vcc, 0x2000, v2
	v_addc_co_u32_e32 v30, vcc, 0, v3, vcc
	s_waitcnt lgkmcnt(5)
	global_store_short v[29:30], v27, off offset:1024
.LBB84_132:
	;; [unrolled: 11-line block ×7, first 2 shown]
	s_or_b64 exec, exec, s[0:1]
	s_load_dword s0, s[4:5], 0x40
	s_waitcnt lgkmcnt(0)
	s_bfe_u32 s0, s0, 0x10008
	s_cmp_eq_u32 s0, 0
	s_cbranch_scc1 .LBB84_150
; %bb.143:
	s_add_u32 s0, s28, -1
	s_addc_u32 s1, s29, -1
	s_mul_i32 s5, s1, 0xaaaaaaab
	s_mul_hi_u32 s6, s0, 0xaaaaaaab
	s_mul_hi_u32 s4, s1, 0xaaaaaaab
	s_add_u32 s5, s5, s6
	s_mul_i32 s3, s0, 0xaaaaaaaa
	s_addc_u32 s4, s4, 0
	s_mul_hi_u32 s2, s0, 0xaaaaaaaa
	s_add_u32 s3, s3, s5
	s_addc_u32 s2, s2, 0
	s_add_u32 s2, s4, s2
	s_addc_u32 s3, 0, 0
	s_mul_i32 s5, s1, 0xaaaaaaaa
	s_mul_hi_u32 s4, s1, 0xaaaaaaaa
	s_add_u32 s2, s5, s2
	s_addc_u32 s3, s4, s3
	s_lshr_b64 s[2:3], s[2:3], 4
	v_cmp_eq_u64_e32 vcc, s[2:3], v[0:1]
	s_and_saveexec_b64 s[2:3], vcc
	s_cbranch_execz .LBB84_150
; %bb.144:
	v_mul_hi_u32_u24_e32 v1, 24, v0
	v_mul_u32_u24_e32 v0, 24, v0
	v_mov_b32_e32 v2, s1
	v_sub_co_u32_e32 v0, vcc, s0, v0
	v_subb_co_u32_e32 v1, vcc, v2, v1, vcc
	v_cmp_lt_i64_e32 vcc, 11, v[0:1]
	s_mov_b64 s[0:1], 0
	s_mov_b64 s[8:9], 0
	;; [unrolled: 1-line block ×4, first 2 shown]
	s_and_saveexec_b64 s[2:3], vcc
	s_xor_b64 s[2:3], exec, s[2:3]
	s_cbranch_execnz .LBB84_151
; %bb.145:
	s_andn2_saveexec_b64 s[2:3], s[2:3]
	s_cbranch_execnz .LBB84_196
.LBB84_146:
	s_or_b64 exec, exec, s[2:3]
	s_and_saveexec_b64 s[2:3], s[8:9]
	s_cbranch_execnz .LBB84_213
.LBB84_147:
	s_or_b64 exec, exec, s[2:3]
	s_and_saveexec_b64 s[2:3], s[6:7]
	s_cbranch_execnz .LBB84_214
.LBB84_148:
	s_or_b64 exec, exec, s[2:3]
	s_and_saveexec_b64 s[2:3], s[4:5]
	s_xor_b64 s[2:3], exec, s[2:3]
	s_cbranch_execnz .LBB84_215
.LBB84_149:
	s_or_b64 exec, exec, s[2:3]
	s_and_b64 exec, exec, s[0:1]
	s_cbranch_execnz .LBB84_216
.LBB84_150:
	s_endpgm
.LBB84_151:
	v_cmp_lt_i64_e32 vcc, 17, v[0:1]
	s_and_saveexec_b64 s[12:13], vcc
	s_xor_b64 s[12:13], exec, s[12:13]
	s_cbranch_execz .LBB84_173
; %bb.152:
	v_cmp_lt_i64_e32 vcc, 20, v[0:1]
	s_and_saveexec_b64 s[14:15], vcc
	s_xor_b64 s[14:15], exec, s[14:15]
	s_cbranch_execz .LBB84_162
; %bb.153:
	v_cmp_lt_i64_e32 vcc, 21, v[0:1]
	s_mov_b64 s[16:17], 0
	s_and_saveexec_b64 s[4:5], vcc
	s_xor_b64 s[4:5], exec, s[4:5]
	s_cbranch_execz .LBB84_159
; %bb.154:
	v_cmp_lt_i64_e32 vcc, 22, v[0:1]
	s_and_saveexec_b64 s[16:17], vcc
	s_xor_b64 s[16:17], exec, s[16:17]
	s_cbranch_execz .LBB84_156
; %bb.155:
	v_mov_b32_e32 v2, 0
	global_store_short v2, v28, s[10:11]
.LBB84_156:
	s_or_saveexec_b64 s[16:17], s[16:17]
	s_mov_b64 s[18:19], 0
	s_xor_b64 exec, exec, s[16:17]
; %bb.157:
	s_mov_b64 s[18:19], exec
; %bb.158:
	s_or_b64 exec, exec, s[16:17]
	s_and_b64 s[16:17], s[18:19], exec
.LBB84_159:
	s_andn2_saveexec_b64 s[4:5], s[4:5]
; %bb.160:
	s_mov_b64 s[6:7], exec
; %bb.161:
	s_or_b64 exec, exec, s[4:5]
	s_and_b64 s[4:5], s[16:17], exec
	s_and_b64 s[6:7], s[6:7], exec
                                        ; implicit-def: $vgpr27
                                        ; implicit-def: $vgpr25
.LBB84_162:
	s_andn2_saveexec_b64 s[14:15], s[14:15]
	s_cbranch_execz .LBB84_172
; %bb.163:
	v_cmp_lt_i64_e32 vcc, 18, v[0:1]
	s_mov_b64 s[16:17], 0
	s_and_saveexec_b64 s[8:9], vcc
	s_xor_b64 s[8:9], exec, s[8:9]
	s_cbranch_execz .LBB84_169
; %bb.164:
	v_cmp_lt_i64_e32 vcc, 19, v[0:1]
	s_and_saveexec_b64 s[18:19], vcc
	s_xor_b64 s[18:19], exec, s[18:19]
; %bb.165:
	s_mov_b64 s[16:17], exec
                                        ; implicit-def: $vgpr25
; %bb.166:
	s_andn2_saveexec_b64 s[18:19], s[18:19]
	s_cbranch_execz .LBB84_168
; %bb.167:
	v_mov_b32_e32 v2, 0
	global_store_short v2, v25, s[10:11]
.LBB84_168:
	s_or_b64 exec, exec, s[18:19]
	s_and_b64 s[16:17], s[16:17], exec
                                        ; implicit-def: $vgpr27
.LBB84_169:
	s_andn2_saveexec_b64 s[8:9], s[8:9]
	s_cbranch_execz .LBB84_171
; %bb.170:
	v_mov_b32_e32 v2, 0
	global_store_short v2, v27, s[10:11]
.LBB84_171:
	s_or_b64 exec, exec, s[8:9]
	s_and_b64 s[8:9], s[16:17], exec
.LBB84_172:
	s_or_b64 exec, exec, s[14:15]
	s_and_b64 s[4:5], s[4:5], exec
	s_and_b64 s[6:7], s[6:7], exec
	s_and_b64 s[8:9], s[8:9], exec
                                        ; implicit-def: $vgpr17
                                        ; implicit-def: $vgpr15
                                        ; implicit-def: $vgpr16
                                        ; implicit-def: $vgpr21
                                        ; implicit-def: $vgpr24
                                        ; implicit-def: $vgpr26
.LBB84_173:
	s_andn2_saveexec_b64 s[12:13], s[12:13]
	s_cbranch_execz .LBB84_195
; %bb.174:
	v_cmp_lt_i64_e32 vcc, 14, v[0:1]
	s_mov_b64 s[14:15], s[4:5]
	s_and_saveexec_b64 s[16:17], vcc
	s_xor_b64 s[16:17], exec, s[16:17]
	s_cbranch_execz .LBB84_184
; %bb.175:
	v_cmp_lt_i64_e32 vcc, 15, v[0:1]
	s_and_saveexec_b64 s[14:15], vcc
	s_xor_b64 s[14:15], exec, s[14:15]
	s_cbranch_execz .LBB84_181
; %bb.176:
	v_cmp_lt_i64_e32 vcc, 16, v[0:1]
	s_and_saveexec_b64 s[18:19], vcc
	s_xor_b64 s[18:19], exec, s[18:19]
	s_cbranch_execz .LBB84_178
; %bb.177:
	v_mov_b32_e32 v2, 0
	global_store_short v2, v26, s[10:11]
                                        ; implicit-def: $vgpr24
.LBB84_178:
	s_andn2_saveexec_b64 s[18:19], s[18:19]
	s_cbranch_execz .LBB84_180
; %bb.179:
	v_mov_b32_e32 v2, 0
	global_store_short v2, v24, s[10:11]
.LBB84_180:
	s_or_b64 exec, exec, s[18:19]
.LBB84_181:
	s_or_saveexec_b64 s[14:15], s[14:15]
	s_mov_b64 s[18:19], s[4:5]
	s_xor_b64 exec, exec, s[14:15]
; %bb.182:
	s_or_b64 s[18:19], s[4:5], exec
; %bb.183:
	s_or_b64 exec, exec, s[14:15]
	s_andn2_b64 s[14:15], s[4:5], exec
	s_and_b64 s[18:19], s[18:19], exec
	s_or_b64 s[14:15], s[14:15], s[18:19]
                                        ; implicit-def: $vgpr16
                                        ; implicit-def: $vgpr21
                                        ; implicit-def: $vgpr15
.LBB84_184:
	s_or_saveexec_b64 s[16:17], s[16:17]
	s_mov_b64 s[18:19], s[6:7]
                                        ; implicit-def: $vgpr11
	s_xor_b64 exec, exec, s[16:17]
	s_cbranch_execz .LBB84_194
; %bb.185:
	v_cmp_lt_i64_e32 vcc, 12, v[0:1]
	s_mov_b64 s[20:21], s[6:7]
	s_mov_b64 s[22:23], s[14:15]
	s_and_saveexec_b64 s[18:19], vcc
	s_xor_b64 s[18:19], exec, s[18:19]
	s_cbranch_execz .LBB84_191
; %bb.186:
	v_cmp_lt_i64_e32 vcc, 13, v[0:1]
	s_mov_b64 s[20:21], s[14:15]
	s_and_saveexec_b64 s[22:23], vcc
	s_xor_b64 s[22:23], exec, s[22:23]
; %bb.187:
	s_or_b64 s[20:21], s[14:15], exec
; %bb.188:
	s_or_saveexec_b64 s[22:23], s[22:23]
	s_mov_b64 s[24:25], s[6:7]
	s_xor_b64 exec, exec, s[22:23]
; %bb.189:
	s_or_b64 s[24:25], s[6:7], exec
; %bb.190:
	s_or_b64 exec, exec, s[22:23]
	s_andn2_b64 s[22:23], s[14:15], exec
	s_and_b64 s[20:21], s[20:21], exec
	s_or_b64 s[22:23], s[22:23], s[20:21]
	s_andn2_b64 s[20:21], s[6:7], exec
	s_and_b64 s[24:25], s[24:25], exec
	s_or_b64 s[20:21], s[20:21], s[24:25]
                                        ; implicit-def: $vgpr21
.LBB84_191:
	s_andn2_saveexec_b64 s[18:19], s[18:19]
; %bb.192:
	s_or_b64 s[20:21], s[20:21], exec
	v_mov_b32_e32 v16, v21
; %bb.193:
	s_or_b64 exec, exec, s[18:19]
	s_andn2_b64 s[14:15], s[14:15], exec
	s_and_b64 s[18:19], s[22:23], exec
	s_or_b64 s[14:15], s[14:15], s[18:19]
	s_andn2_b64 s[18:19], s[6:7], exec
	s_and_b64 s[20:21], s[20:21], exec
	s_or_b64 s[18:19], s[18:19], s[20:21]
	v_mov_b32_e32 v17, v15
	v_mov_b32_e32 v11, v16
.LBB84_194:
	s_or_b64 exec, exec, s[16:17]
	s_andn2_b64 s[4:5], s[4:5], exec
	s_and_b64 s[14:15], s[14:15], exec
	s_or_b64 s[4:5], s[4:5], s[14:15]
	s_andn2_b64 s[6:7], s[6:7], exec
	s_and_b64 s[14:15], s[18:19], exec
	s_or_b64 s[6:7], s[6:7], s[14:15]
	v_mov_b32_e32 v12, v17
.LBB84_195:
	s_or_b64 exec, exec, s[12:13]
	s_and_b64 s[4:5], s[4:5], exec
	s_and_b64 s[6:7], s[6:7], exec
	;; [unrolled: 1-line block ×3, first 2 shown]
                                        ; implicit-def: $vgpr18
                                        ; implicit-def: $vgpr23
                                        ; implicit-def: $vgpr20
                                        ; implicit-def: $vgpr22
                                        ; implicit-def: $vgpr13
                                        ; implicit-def: $vgpr14
	s_andn2_saveexec_b64 s[2:3], s[2:3]
	s_cbranch_execz .LBB84_146
.LBB84_196:
	v_cmp_lt_i64_e32 vcc, 5, v[0:1]
	s_mov_b64 s[14:15], -1
	s_mov_b64 s[12:13], s[8:9]
	s_mov_b64 s[16:17], s[6:7]
	;; [unrolled: 1-line block ×3, first 2 shown]
                                        ; implicit-def: $vgpr10
	s_and_saveexec_b64 s[0:1], vcc
	s_cbranch_execz .LBB84_212
; %bb.197:
	v_cmp_lt_i64_e32 vcc, 8, v[0:1]
	s_mov_b64 s[12:13], s[8:9]
                                        ; implicit-def: $vgpr10
	s_and_saveexec_b64 s[14:15], vcc
	s_xor_b64 s[14:15], exec, s[14:15]
	s_cbranch_execz .LBB84_207
; %bb.198:
	v_cmp_lt_i64_e32 vcc, 9, v[0:1]
	s_and_saveexec_b64 s[12:13], vcc
	s_xor_b64 s[12:13], exec, s[12:13]
	s_cbranch_execz .LBB84_204
; %bb.199:
	v_cmp_lt_i64_e32 vcc, 10, v[0:1]
	s_and_saveexec_b64 s[16:17], vcc
	s_xor_b64 s[16:17], exec, s[16:17]
; %bb.200:
                                        ; implicit-def: $vgpr22
; %bb.201:
	s_andn2_saveexec_b64 s[16:17], s[16:17]
; %bb.202:
	v_mov_b32_e32 v20, v22
; %bb.203:
	s_or_b64 exec, exec, s[16:17]
                                        ; implicit-def: $vgpr23
.LBB84_204:
	s_andn2_saveexec_b64 s[12:13], s[12:13]
; %bb.205:
	v_mov_b32_e32 v20, v23
; %bb.206:
	s_or_b64 exec, exec, s[12:13]
	s_or_b64 s[12:13], s[8:9], exec
	v_mov_b32_e32 v10, v20
                                        ; implicit-def: $vgpr18
.LBB84_207:
	s_or_saveexec_b64 s[14:15], s[14:15]
	s_mov_b64 s[16:17], s[6:7]
	s_mov_b64 s[20:21], s[4:5]
	s_xor_b64 exec, exec, s[14:15]
	s_cbranch_execz .LBB84_211
; %bb.208:
	v_cmp_lt_i64_e32 vcc, 6, v[0:1]
	s_mov_b64 s[20:21], -1
	s_mov_b64 s[18:19], s[12:13]
	s_mov_b64 s[16:17], s[6:7]
	s_and_saveexec_b64 s[22:23], vcc
; %bb.209:
	v_cmp_lt_i64_e32 vcc, 7, v[0:1]
	s_andn2_b64 s[18:19], s[12:13], exec
	s_and_b64 s[24:25], vcc, exec
	s_xor_b64 s[20:21], exec, -1
	s_or_b64 s[16:17], s[6:7], exec
	s_or_b64 s[18:19], s[18:19], s[24:25]
; %bb.210:
	s_or_b64 exec, exec, s[22:23]
	s_andn2_b64 s[22:23], s[4:5], exec
	s_and_b64 s[20:21], s[20:21], exec
	s_or_b64 s[20:21], s[22:23], s[20:21]
	s_andn2_b64 s[22:23], s[6:7], exec
	s_and_b64 s[16:17], s[16:17], exec
	s_andn2_b64 s[12:13], s[12:13], exec
	s_and_b64 s[18:19], s[18:19], exec
	s_or_b64 s[16:17], s[22:23], s[16:17]
	s_or_b64 s[12:13], s[12:13], s[18:19]
	v_mov_b32_e32 v10, v18
.LBB84_211:
	s_or_b64 exec, exec, s[14:15]
	s_andn2_b64 s[18:19], s[4:5], exec
	s_and_b64 s[20:21], s[20:21], exec
	s_or_b64 s[18:19], s[18:19], s[20:21]
	s_andn2_b64 s[20:21], s[6:7], exec
	s_and_b64 s[16:17], s[16:17], exec
	s_or_b64 s[16:17], s[20:21], s[16:17]
	s_andn2_b64 s[20:21], s[8:9], exec
	s_and_b64 s[12:13], s[12:13], exec
	s_xor_b64 s[14:15], exec, -1
	s_or_b64 s[12:13], s[20:21], s[12:13]
.LBB84_212:
	s_or_b64 exec, exec, s[0:1]
	s_and_b64 s[0:1], s[14:15], exec
	s_andn2_b64 s[4:5], s[4:5], exec
	s_and_b64 s[14:15], s[18:19], exec
	s_or_b64 s[4:5], s[4:5], s[14:15]
	s_andn2_b64 s[6:7], s[6:7], exec
	s_and_b64 s[14:15], s[16:17], exec
	s_andn2_b64 s[8:9], s[8:9], exec
	s_and_b64 s[12:13], s[12:13], exec
	s_or_b64 s[6:7], s[6:7], s[14:15]
	s_or_b64 s[8:9], s[8:9], s[12:13]
	v_mov_b32_e32 v12, v13
	v_mov_b32_e32 v11, v14
	s_or_b64 exec, exec, s[2:3]
	s_and_saveexec_b64 s[2:3], s[8:9]
	s_cbranch_execz .LBB84_147
.LBB84_213:
	v_mov_b32_e32 v2, 0
	s_andn2_b64 s[6:7], s[6:7], exec
	global_store_short v2, v10, s[10:11]
	s_or_b64 exec, exec, s[2:3]
	s_and_saveexec_b64 s[2:3], s[6:7]
	s_cbranch_execz .LBB84_148
.LBB84_214:
	v_mov_b32_e32 v2, 0
	global_store_short v2, v11, s[10:11]
	s_or_b64 exec, exec, s[2:3]
	s_and_saveexec_b64 s[2:3], s[4:5]
	s_xor_b64 s[2:3], exec, s[2:3]
	s_cbranch_execz .LBB84_149
.LBB84_215:
	v_mov_b32_e32 v2, 0
	global_store_short v2, v12, s[10:11]
	s_or_b64 exec, exec, s[2:3]
	s_and_b64 exec, exec, s[0:1]
	s_cbranch_execz .LBB84_150
.LBB84_216:
	v_cmp_lt_i64_e32 vcc, 2, v[0:1]
	s_and_saveexec_b64 s[0:1], vcc
	s_xor_b64 s[0:1], exec, s[0:1]
	s_cbranch_execz .LBB84_226
; %bb.217:
	v_cmp_lt_i64_e32 vcc, 3, v[0:1]
	s_and_saveexec_b64 s[2:3], vcc
	s_xor_b64 s[2:3], exec, s[2:3]
	s_cbranch_execz .LBB84_223
; %bb.218:
	;; [unrolled: 5-line block ×3, first 2 shown]
	v_mov_b32_e32 v0, 0
	global_store_short v0, v9, s[10:11]
                                        ; implicit-def: $vgpr6
.LBB84_220:
	s_andn2_saveexec_b64 s[4:5], s[4:5]
	s_cbranch_execz .LBB84_222
; %bb.221:
	v_mov_b32_e32 v0, 0
	global_store_short v0, v6, s[10:11]
.LBB84_222:
	s_or_b64 exec, exec, s[4:5]
                                        ; implicit-def: $vgpr8
.LBB84_223:
	s_andn2_saveexec_b64 s[2:3], s[2:3]
	s_cbranch_execz .LBB84_225
; %bb.224:
	v_mov_b32_e32 v0, 0
	global_store_short v0, v8, s[10:11]
.LBB84_225:
	s_or_b64 exec, exec, s[2:3]
                                        ; implicit-def: $vgpr0_vgpr1
                                        ; implicit-def: $vgpr7
                                        ; implicit-def: $vgpr4
                                        ; implicit-def: $vgpr5
.LBB84_226:
	s_andn2_saveexec_b64 s[0:1], s[0:1]
	s_cbranch_execz .LBB84_150
; %bb.227:
	v_cmp_lt_i64_e32 vcc, 1, v[0:1]
	s_and_saveexec_b64 s[0:1], vcc
	s_xor_b64 s[0:1], exec, s[0:1]
	s_cbranch_execz .LBB84_229
; %bb.228:
	v_mov_b32_e32 v0, 0
	global_store_short v0, v7, s[10:11]
                                        ; implicit-def: $vgpr4
                                        ; implicit-def: $vgpr0_vgpr1
                                        ; implicit-def: $vgpr5
.LBB84_229:
	s_andn2_saveexec_b64 s[0:1], s[0:1]
	s_cbranch_execz .LBB84_150
; %bb.230:
	v_cmp_ne_u64_e32 vcc, 1, v[0:1]
	s_and_saveexec_b64 s[0:1], vcc
	s_xor_b64 s[0:1], exec, s[0:1]
	s_cbranch_execz .LBB84_232
; %bb.231:
	v_mov_b32_e32 v0, 0
	global_store_short v0, v5, s[10:11]
                                        ; implicit-def: $vgpr4
.LBB84_232:
	s_andn2_saveexec_b64 s[0:1], s[0:1]
	s_cbranch_execz .LBB84_150
; %bb.233:
	v_mov_b32_e32 v0, 0
	global_store_short v0, v4, s[10:11]
	s_endpgm
	.section	.rodata,"a",@progbits
	.p2align	6, 0x0
	.amdhsa_kernel _ZN7rocprim17ROCPRIM_304000_NS6detail20lookback_scan_kernelILNS1_25lookback_scan_determinismE0ELb0ENS1_19wrapped_scan_configINS0_14default_configEN3c104HalfEEEPKS7_PS7_St10multipliesIS7_ES7_S7_NS1_19lookback_scan_stateIS7_Lb0ELb1EEEEEvT2_T3_mT5_T4_T7_jPT6_SM_bb
		.amdhsa_group_segment_fixed_size 12288
		.amdhsa_private_segment_fixed_size 0
		.amdhsa_kernarg_size 68
		.amdhsa_user_sgpr_count 6
		.amdhsa_user_sgpr_private_segment_buffer 1
		.amdhsa_user_sgpr_dispatch_ptr 0
		.amdhsa_user_sgpr_queue_ptr 0
		.amdhsa_user_sgpr_kernarg_segment_ptr 1
		.amdhsa_user_sgpr_dispatch_id 0
		.amdhsa_user_sgpr_flat_scratch_init 0
		.amdhsa_user_sgpr_private_segment_size 0
		.amdhsa_uses_dynamic_stack 0
		.amdhsa_system_sgpr_private_segment_wavefront_offset 0
		.amdhsa_system_sgpr_workgroup_id_x 1
		.amdhsa_system_sgpr_workgroup_id_y 0
		.amdhsa_system_sgpr_workgroup_id_z 0
		.amdhsa_system_sgpr_workgroup_info 0
		.amdhsa_system_vgpr_workitem_id 0
		.amdhsa_next_free_vgpr 47
		.amdhsa_next_free_sgpr 98
		.amdhsa_reserve_vcc 1
		.amdhsa_reserve_flat_scratch 0
		.amdhsa_float_round_mode_32 0
		.amdhsa_float_round_mode_16_64 0
		.amdhsa_float_denorm_mode_32 3
		.amdhsa_float_denorm_mode_16_64 3
		.amdhsa_dx10_clamp 1
		.amdhsa_ieee_mode 1
		.amdhsa_fp16_overflow 0
		.amdhsa_exception_fp_ieee_invalid_op 0
		.amdhsa_exception_fp_denorm_src 0
		.amdhsa_exception_fp_ieee_div_zero 0
		.amdhsa_exception_fp_ieee_overflow 0
		.amdhsa_exception_fp_ieee_underflow 0
		.amdhsa_exception_fp_ieee_inexact 0
		.amdhsa_exception_int_div_zero 0
	.end_amdhsa_kernel
	.section	.text._ZN7rocprim17ROCPRIM_304000_NS6detail20lookback_scan_kernelILNS1_25lookback_scan_determinismE0ELb0ENS1_19wrapped_scan_configINS0_14default_configEN3c104HalfEEEPKS7_PS7_St10multipliesIS7_ES7_S7_NS1_19lookback_scan_stateIS7_Lb0ELb1EEEEEvT2_T3_mT5_T4_T7_jPT6_SM_bb,"axG",@progbits,_ZN7rocprim17ROCPRIM_304000_NS6detail20lookback_scan_kernelILNS1_25lookback_scan_determinismE0ELb0ENS1_19wrapped_scan_configINS0_14default_configEN3c104HalfEEEPKS7_PS7_St10multipliesIS7_ES7_S7_NS1_19lookback_scan_stateIS7_Lb0ELb1EEEEEvT2_T3_mT5_T4_T7_jPT6_SM_bb,comdat
.Lfunc_end84:
	.size	_ZN7rocprim17ROCPRIM_304000_NS6detail20lookback_scan_kernelILNS1_25lookback_scan_determinismE0ELb0ENS1_19wrapped_scan_configINS0_14default_configEN3c104HalfEEEPKS7_PS7_St10multipliesIS7_ES7_S7_NS1_19lookback_scan_stateIS7_Lb0ELb1EEEEEvT2_T3_mT5_T4_T7_jPT6_SM_bb, .Lfunc_end84-_ZN7rocprim17ROCPRIM_304000_NS6detail20lookback_scan_kernelILNS1_25lookback_scan_determinismE0ELb0ENS1_19wrapped_scan_configINS0_14default_configEN3c104HalfEEEPKS7_PS7_St10multipliesIS7_ES7_S7_NS1_19lookback_scan_stateIS7_Lb0ELb1EEEEEvT2_T3_mT5_T4_T7_jPT6_SM_bb
                                        ; -- End function
	.set _ZN7rocprim17ROCPRIM_304000_NS6detail20lookback_scan_kernelILNS1_25lookback_scan_determinismE0ELb0ENS1_19wrapped_scan_configINS0_14default_configEN3c104HalfEEEPKS7_PS7_St10multipliesIS7_ES7_S7_NS1_19lookback_scan_stateIS7_Lb0ELb1EEEEEvT2_T3_mT5_T4_T7_jPT6_SM_bb.num_vgpr, 47
	.set _ZN7rocprim17ROCPRIM_304000_NS6detail20lookback_scan_kernelILNS1_25lookback_scan_determinismE0ELb0ENS1_19wrapped_scan_configINS0_14default_configEN3c104HalfEEEPKS7_PS7_St10multipliesIS7_ES7_S7_NS1_19lookback_scan_stateIS7_Lb0ELb1EEEEEvT2_T3_mT5_T4_T7_jPT6_SM_bb.num_agpr, 0
	.set _ZN7rocprim17ROCPRIM_304000_NS6detail20lookback_scan_kernelILNS1_25lookback_scan_determinismE0ELb0ENS1_19wrapped_scan_configINS0_14default_configEN3c104HalfEEEPKS7_PS7_St10multipliesIS7_ES7_S7_NS1_19lookback_scan_stateIS7_Lb0ELb1EEEEEvT2_T3_mT5_T4_T7_jPT6_SM_bb.numbered_sgpr, 32
	.set _ZN7rocprim17ROCPRIM_304000_NS6detail20lookback_scan_kernelILNS1_25lookback_scan_determinismE0ELb0ENS1_19wrapped_scan_configINS0_14default_configEN3c104HalfEEEPKS7_PS7_St10multipliesIS7_ES7_S7_NS1_19lookback_scan_stateIS7_Lb0ELb1EEEEEvT2_T3_mT5_T4_T7_jPT6_SM_bb.num_named_barrier, 0
	.set _ZN7rocprim17ROCPRIM_304000_NS6detail20lookback_scan_kernelILNS1_25lookback_scan_determinismE0ELb0ENS1_19wrapped_scan_configINS0_14default_configEN3c104HalfEEEPKS7_PS7_St10multipliesIS7_ES7_S7_NS1_19lookback_scan_stateIS7_Lb0ELb1EEEEEvT2_T3_mT5_T4_T7_jPT6_SM_bb.private_seg_size, 0
	.set _ZN7rocprim17ROCPRIM_304000_NS6detail20lookback_scan_kernelILNS1_25lookback_scan_determinismE0ELb0ENS1_19wrapped_scan_configINS0_14default_configEN3c104HalfEEEPKS7_PS7_St10multipliesIS7_ES7_S7_NS1_19lookback_scan_stateIS7_Lb0ELb1EEEEEvT2_T3_mT5_T4_T7_jPT6_SM_bb.uses_vcc, 1
	.set _ZN7rocprim17ROCPRIM_304000_NS6detail20lookback_scan_kernelILNS1_25lookback_scan_determinismE0ELb0ENS1_19wrapped_scan_configINS0_14default_configEN3c104HalfEEEPKS7_PS7_St10multipliesIS7_ES7_S7_NS1_19lookback_scan_stateIS7_Lb0ELb1EEEEEvT2_T3_mT5_T4_T7_jPT6_SM_bb.uses_flat_scratch, 0
	.set _ZN7rocprim17ROCPRIM_304000_NS6detail20lookback_scan_kernelILNS1_25lookback_scan_determinismE0ELb0ENS1_19wrapped_scan_configINS0_14default_configEN3c104HalfEEEPKS7_PS7_St10multipliesIS7_ES7_S7_NS1_19lookback_scan_stateIS7_Lb0ELb1EEEEEvT2_T3_mT5_T4_T7_jPT6_SM_bb.has_dyn_sized_stack, 0
	.set _ZN7rocprim17ROCPRIM_304000_NS6detail20lookback_scan_kernelILNS1_25lookback_scan_determinismE0ELb0ENS1_19wrapped_scan_configINS0_14default_configEN3c104HalfEEEPKS7_PS7_St10multipliesIS7_ES7_S7_NS1_19lookback_scan_stateIS7_Lb0ELb1EEEEEvT2_T3_mT5_T4_T7_jPT6_SM_bb.has_recursion, 0
	.set _ZN7rocprim17ROCPRIM_304000_NS6detail20lookback_scan_kernelILNS1_25lookback_scan_determinismE0ELb0ENS1_19wrapped_scan_configINS0_14default_configEN3c104HalfEEEPKS7_PS7_St10multipliesIS7_ES7_S7_NS1_19lookback_scan_stateIS7_Lb0ELb1EEEEEvT2_T3_mT5_T4_T7_jPT6_SM_bb.has_indirect_call, 0
	.section	.AMDGPU.csdata,"",@progbits
; Kernel info:
; codeLenInByte = 8540
; TotalNumSgprs: 36
; NumVgprs: 47
; ScratchSize: 0
; MemoryBound: 0
; FloatMode: 240
; IeeeMode: 1
; LDSByteSize: 12288 bytes/workgroup (compile time only)
; SGPRBlocks: 12
; VGPRBlocks: 11
; NumSGPRsForWavesPerEU: 102
; NumVGPRsForWavesPerEU: 47
; Occupancy: 5
; WaveLimiterHint : 1
; COMPUTE_PGM_RSRC2:SCRATCH_EN: 0
; COMPUTE_PGM_RSRC2:USER_SGPR: 6
; COMPUTE_PGM_RSRC2:TRAP_HANDLER: 0
; COMPUTE_PGM_RSRC2:TGID_X_EN: 1
; COMPUTE_PGM_RSRC2:TGID_Y_EN: 0
; COMPUTE_PGM_RSRC2:TGID_Z_EN: 0
; COMPUTE_PGM_RSRC2:TIDIG_COMP_CNT: 0
	.section	.text._ZN7rocprim17ROCPRIM_304000_NS6detail16transform_kernelINS1_24wrapped_transform_configINS0_14default_configEN3c104HalfEEES6_PS6_S8_NS0_8identityIS6_EEEEvT1_mT2_T3_,"axG",@progbits,_ZN7rocprim17ROCPRIM_304000_NS6detail16transform_kernelINS1_24wrapped_transform_configINS0_14default_configEN3c104HalfEEES6_PS6_S8_NS0_8identityIS6_EEEEvT1_mT2_T3_,comdat
	.protected	_ZN7rocprim17ROCPRIM_304000_NS6detail16transform_kernelINS1_24wrapped_transform_configINS0_14default_configEN3c104HalfEEES6_PS6_S8_NS0_8identityIS6_EEEEvT1_mT2_T3_ ; -- Begin function _ZN7rocprim17ROCPRIM_304000_NS6detail16transform_kernelINS1_24wrapped_transform_configINS0_14default_configEN3c104HalfEEES6_PS6_S8_NS0_8identityIS6_EEEEvT1_mT2_T3_
	.globl	_ZN7rocprim17ROCPRIM_304000_NS6detail16transform_kernelINS1_24wrapped_transform_configINS0_14default_configEN3c104HalfEEES6_PS6_S8_NS0_8identityIS6_EEEEvT1_mT2_T3_
	.p2align	8
	.type	_ZN7rocprim17ROCPRIM_304000_NS6detail16transform_kernelINS1_24wrapped_transform_configINS0_14default_configEN3c104HalfEEES6_PS6_S8_NS0_8identityIS6_EEEEvT1_mT2_T3_,@function
_ZN7rocprim17ROCPRIM_304000_NS6detail16transform_kernelINS1_24wrapped_transform_configINS0_14default_configEN3c104HalfEEES6_PS6_S8_NS0_8identityIS6_EEEEvT1_mT2_T3_: ; @_ZN7rocprim17ROCPRIM_304000_NS6detail16transform_kernelINS1_24wrapped_transform_configINS0_14default_configEN3c104HalfEEES6_PS6_S8_NS0_8identityIS6_EEEEvT1_mT2_T3_
; %bb.0:
	s_load_dword s7, s[4:5], 0x20
	s_load_dwordx4 s[0:3], s[4:5], 0x0
	s_load_dwordx2 s[8:9], s[4:5], 0x10
	s_lshl_b32 s4, s6, 11
	s_mov_b32 s5, 0
	s_waitcnt lgkmcnt(0)
	s_add_i32 s7, s7, -1
	s_lshl_b64 s[10:11], s[4:5], 1
	s_add_u32 s0, s0, s10
	s_addc_u32 s1, s1, s11
	v_lshlrev_b32_e32 v3, 1, v0
	v_mov_b32_e32 v2, s1
	v_add_co_u32_e32 v1, vcc, s0, v3
	s_cmp_lg_u32 s6, s7
	v_addc_co_u32_e32 v2, vcc, 0, v2, vcc
	s_cbranch_scc0 .LBB85_2
; %bb.1:
	global_load_ushort v5, v[1:2], off
	global_load_ushort v6, v[1:2], off offset:1024
	global_load_ushort v7, v[1:2], off offset:2048
	;; [unrolled: 1-line block ×3, first 2 shown]
	s_add_u32 s6, s8, s10
	s_addc_u32 s7, s9, s11
	s_waitcnt vmcnt(3)
	global_store_short v3, v5, s[6:7]
	s_waitcnt vmcnt(3)
	global_store_short v3, v6, s[6:7] offset:1024
	s_waitcnt vmcnt(3)
	global_store_short v3, v7, s[6:7] offset:2048
	s_mov_b64 s[6:7], -1
	s_cbranch_execz .LBB85_3
	s_branch .LBB85_16
.LBB85_2:
	s_mov_b64 s[6:7], 0
                                        ; implicit-def: $vgpr4
.LBB85_3:
	s_sub_i32 s6, s2, s4
	v_cmp_gt_u32_e32 vcc, s6, v0
                                        ; implicit-def: $vgpr5
	s_and_saveexec_b64 s[0:1], vcc
	s_cbranch_execz .LBB85_5
; %bb.4:
	global_load_ushort v5, v[1:2], off
.LBB85_5:
	s_or_b64 exec, exec, s[0:1]
	s_waitcnt vmcnt(3)
	v_or_b32_e32 v4, 0x200, v0
	v_cmp_gt_u32_e64 s[0:1], s6, v4
                                        ; implicit-def: $vgpr6
	s_and_saveexec_b64 s[2:3], s[0:1]
	s_cbranch_execz .LBB85_7
; %bb.6:
	global_load_ushort v6, v[1:2], off offset:1024
.LBB85_7:
	s_or_b64 exec, exec, s[2:3]
	v_or_b32_e32 v4, 0x400, v0
	v_cmp_gt_u32_e64 s[2:3], s6, v4
                                        ; implicit-def: $vgpr7
	s_and_saveexec_b64 s[4:5], s[2:3]
	s_cbranch_execz .LBB85_9
; %bb.8:
	global_load_ushort v7, v[1:2], off offset:2048
.LBB85_9:
	s_or_b64 exec, exec, s[4:5]
	v_or_b32_e32 v0, 0x600, v0
	v_cmp_gt_u32_e64 s[6:7], s6, v0
                                        ; implicit-def: $vgpr4
	s_and_saveexec_b64 s[4:5], s[6:7]
	s_cbranch_execz .LBB85_11
; %bb.10:
	global_load_ushort v4, v[1:2], off offset:3072
.LBB85_11:
	s_or_b64 exec, exec, s[4:5]
	s_add_u32 s4, s8, s10
	s_addc_u32 s5, s9, s11
	v_mov_b32_e32 v1, s5
	v_add_co_u32_e64 v0, s[4:5], s4, v3
	v_addc_co_u32_e64 v1, s[4:5], 0, v1, s[4:5]
	s_and_saveexec_b64 s[4:5], vcc
	s_cbranch_execnz .LBB85_19
; %bb.12:
	s_or_b64 exec, exec, s[4:5]
	s_and_saveexec_b64 s[4:5], s[0:1]
	s_cbranch_execnz .LBB85_20
.LBB85_13:
	s_or_b64 exec, exec, s[4:5]
	s_and_saveexec_b64 s[0:1], s[2:3]
	s_cbranch_execz .LBB85_15
.LBB85_14:
	s_waitcnt vmcnt(0)
	global_store_short v[0:1], v7, off offset:2048
.LBB85_15:
	s_or_b64 exec, exec, s[0:1]
.LBB85_16:
	s_and_saveexec_b64 s[0:1], s[6:7]
	s_cbranch_execnz .LBB85_18
; %bb.17:
	s_endpgm
.LBB85_18:
	s_add_u32 s0, s8, s10
	s_addc_u32 s1, s9, s11
	s_waitcnt vmcnt(0)
	global_store_short v3, v4, s[0:1] offset:3072
	s_endpgm
.LBB85_19:
	s_waitcnt vmcnt(0)
	global_store_short v[0:1], v5, off
	s_or_b64 exec, exec, s[4:5]
	s_and_saveexec_b64 s[4:5], s[0:1]
	s_cbranch_execz .LBB85_13
.LBB85_20:
	s_waitcnt vmcnt(0)
	global_store_short v[0:1], v6, off offset:1024
	s_or_b64 exec, exec, s[4:5]
	s_and_saveexec_b64 s[0:1], s[2:3]
	s_cbranch_execnz .LBB85_14
	s_branch .LBB85_15
	.section	.rodata,"a",@progbits
	.p2align	6, 0x0
	.amdhsa_kernel _ZN7rocprim17ROCPRIM_304000_NS6detail16transform_kernelINS1_24wrapped_transform_configINS0_14default_configEN3c104HalfEEES6_PS6_S8_NS0_8identityIS6_EEEEvT1_mT2_T3_
		.amdhsa_group_segment_fixed_size 0
		.amdhsa_private_segment_fixed_size 0
		.amdhsa_kernarg_size 288
		.amdhsa_user_sgpr_count 6
		.amdhsa_user_sgpr_private_segment_buffer 1
		.amdhsa_user_sgpr_dispatch_ptr 0
		.amdhsa_user_sgpr_queue_ptr 0
		.amdhsa_user_sgpr_kernarg_segment_ptr 1
		.amdhsa_user_sgpr_dispatch_id 0
		.amdhsa_user_sgpr_flat_scratch_init 0
		.amdhsa_user_sgpr_private_segment_size 0
		.amdhsa_uses_dynamic_stack 0
		.amdhsa_system_sgpr_private_segment_wavefront_offset 0
		.amdhsa_system_sgpr_workgroup_id_x 1
		.amdhsa_system_sgpr_workgroup_id_y 0
		.amdhsa_system_sgpr_workgroup_id_z 0
		.amdhsa_system_sgpr_workgroup_info 0
		.amdhsa_system_vgpr_workitem_id 0
		.amdhsa_next_free_vgpr 8
		.amdhsa_next_free_sgpr 12
		.amdhsa_reserve_vcc 1
		.amdhsa_reserve_flat_scratch 0
		.amdhsa_float_round_mode_32 0
		.amdhsa_float_round_mode_16_64 0
		.amdhsa_float_denorm_mode_32 3
		.amdhsa_float_denorm_mode_16_64 3
		.amdhsa_dx10_clamp 1
		.amdhsa_ieee_mode 1
		.amdhsa_fp16_overflow 0
		.amdhsa_exception_fp_ieee_invalid_op 0
		.amdhsa_exception_fp_denorm_src 0
		.amdhsa_exception_fp_ieee_div_zero 0
		.amdhsa_exception_fp_ieee_overflow 0
		.amdhsa_exception_fp_ieee_underflow 0
		.amdhsa_exception_fp_ieee_inexact 0
		.amdhsa_exception_int_div_zero 0
	.end_amdhsa_kernel
	.section	.text._ZN7rocprim17ROCPRIM_304000_NS6detail16transform_kernelINS1_24wrapped_transform_configINS0_14default_configEN3c104HalfEEES6_PS6_S8_NS0_8identityIS6_EEEEvT1_mT2_T3_,"axG",@progbits,_ZN7rocprim17ROCPRIM_304000_NS6detail16transform_kernelINS1_24wrapped_transform_configINS0_14default_configEN3c104HalfEEES6_PS6_S8_NS0_8identityIS6_EEEEvT1_mT2_T3_,comdat
.Lfunc_end85:
	.size	_ZN7rocprim17ROCPRIM_304000_NS6detail16transform_kernelINS1_24wrapped_transform_configINS0_14default_configEN3c104HalfEEES6_PS6_S8_NS0_8identityIS6_EEEEvT1_mT2_T3_, .Lfunc_end85-_ZN7rocprim17ROCPRIM_304000_NS6detail16transform_kernelINS1_24wrapped_transform_configINS0_14default_configEN3c104HalfEEES6_PS6_S8_NS0_8identityIS6_EEEEvT1_mT2_T3_
                                        ; -- End function
	.set _ZN7rocprim17ROCPRIM_304000_NS6detail16transform_kernelINS1_24wrapped_transform_configINS0_14default_configEN3c104HalfEEES6_PS6_S8_NS0_8identityIS6_EEEEvT1_mT2_T3_.num_vgpr, 8
	.set _ZN7rocprim17ROCPRIM_304000_NS6detail16transform_kernelINS1_24wrapped_transform_configINS0_14default_configEN3c104HalfEEES6_PS6_S8_NS0_8identityIS6_EEEEvT1_mT2_T3_.num_agpr, 0
	.set _ZN7rocprim17ROCPRIM_304000_NS6detail16transform_kernelINS1_24wrapped_transform_configINS0_14default_configEN3c104HalfEEES6_PS6_S8_NS0_8identityIS6_EEEEvT1_mT2_T3_.numbered_sgpr, 12
	.set _ZN7rocprim17ROCPRIM_304000_NS6detail16transform_kernelINS1_24wrapped_transform_configINS0_14default_configEN3c104HalfEEES6_PS6_S8_NS0_8identityIS6_EEEEvT1_mT2_T3_.num_named_barrier, 0
	.set _ZN7rocprim17ROCPRIM_304000_NS6detail16transform_kernelINS1_24wrapped_transform_configINS0_14default_configEN3c104HalfEEES6_PS6_S8_NS0_8identityIS6_EEEEvT1_mT2_T3_.private_seg_size, 0
	.set _ZN7rocprim17ROCPRIM_304000_NS6detail16transform_kernelINS1_24wrapped_transform_configINS0_14default_configEN3c104HalfEEES6_PS6_S8_NS0_8identityIS6_EEEEvT1_mT2_T3_.uses_vcc, 1
	.set _ZN7rocprim17ROCPRIM_304000_NS6detail16transform_kernelINS1_24wrapped_transform_configINS0_14default_configEN3c104HalfEEES6_PS6_S8_NS0_8identityIS6_EEEEvT1_mT2_T3_.uses_flat_scratch, 0
	.set _ZN7rocprim17ROCPRIM_304000_NS6detail16transform_kernelINS1_24wrapped_transform_configINS0_14default_configEN3c104HalfEEES6_PS6_S8_NS0_8identityIS6_EEEEvT1_mT2_T3_.has_dyn_sized_stack, 0
	.set _ZN7rocprim17ROCPRIM_304000_NS6detail16transform_kernelINS1_24wrapped_transform_configINS0_14default_configEN3c104HalfEEES6_PS6_S8_NS0_8identityIS6_EEEEvT1_mT2_T3_.has_recursion, 0
	.set _ZN7rocprim17ROCPRIM_304000_NS6detail16transform_kernelINS1_24wrapped_transform_configINS0_14default_configEN3c104HalfEEES6_PS6_S8_NS0_8identityIS6_EEEEvT1_mT2_T3_.has_indirect_call, 0
	.section	.AMDGPU.csdata,"",@progbits
; Kernel info:
; codeLenInByte = 472
; TotalNumSgprs: 16
; NumVgprs: 8
; ScratchSize: 0
; MemoryBound: 0
; FloatMode: 240
; IeeeMode: 1
; LDSByteSize: 0 bytes/workgroup (compile time only)
; SGPRBlocks: 1
; VGPRBlocks: 1
; NumSGPRsForWavesPerEU: 16
; NumVGPRsForWavesPerEU: 8
; Occupancy: 10
; WaveLimiterHint : 1
; COMPUTE_PGM_RSRC2:SCRATCH_EN: 0
; COMPUTE_PGM_RSRC2:USER_SGPR: 6
; COMPUTE_PGM_RSRC2:TRAP_HANDLER: 0
; COMPUTE_PGM_RSRC2:TGID_X_EN: 1
; COMPUTE_PGM_RSRC2:TGID_Y_EN: 0
; COMPUTE_PGM_RSRC2:TGID_Z_EN: 0
; COMPUTE_PGM_RSRC2:TIDIG_COMP_CNT: 0
	.section	.text._ZN7rocprim17ROCPRIM_304000_NS6detail18single_scan_kernelILb0ENS1_19wrapped_scan_configINS0_14default_configEN3c104HalfEEEPKS6_PS6_St10multipliesIS6_ES6_S6_EEvT1_mT4_T2_T3_,"axG",@progbits,_ZN7rocprim17ROCPRIM_304000_NS6detail18single_scan_kernelILb0ENS1_19wrapped_scan_configINS0_14default_configEN3c104HalfEEEPKS6_PS6_St10multipliesIS6_ES6_S6_EEvT1_mT4_T2_T3_,comdat
	.protected	_ZN7rocprim17ROCPRIM_304000_NS6detail18single_scan_kernelILb0ENS1_19wrapped_scan_configINS0_14default_configEN3c104HalfEEEPKS6_PS6_St10multipliesIS6_ES6_S6_EEvT1_mT4_T2_T3_ ; -- Begin function _ZN7rocprim17ROCPRIM_304000_NS6detail18single_scan_kernelILb0ENS1_19wrapped_scan_configINS0_14default_configEN3c104HalfEEEPKS6_PS6_St10multipliesIS6_ES6_S6_EEvT1_mT4_T2_T3_
	.globl	_ZN7rocprim17ROCPRIM_304000_NS6detail18single_scan_kernelILb0ENS1_19wrapped_scan_configINS0_14default_configEN3c104HalfEEEPKS6_PS6_St10multipliesIS6_ES6_S6_EEvT1_mT4_T2_T3_
	.p2align	8
	.type	_ZN7rocprim17ROCPRIM_304000_NS6detail18single_scan_kernelILb0ENS1_19wrapped_scan_configINS0_14default_configEN3c104HalfEEEPKS6_PS6_St10multipliesIS6_ES6_S6_EEvT1_mT4_T2_T3_,@function
_ZN7rocprim17ROCPRIM_304000_NS6detail18single_scan_kernelILb0ENS1_19wrapped_scan_configINS0_14default_configEN3c104HalfEEEPKS6_PS6_St10multipliesIS6_ES6_S6_EEvT1_mT4_T2_T3_: ; @_ZN7rocprim17ROCPRIM_304000_NS6detail18single_scan_kernelILb0ENS1_19wrapped_scan_configINS0_14default_configEN3c104HalfEEEPKS6_PS6_St10multipliesIS6_ES6_S6_EEvT1_mT4_T2_T3_
; %bb.0:
	s_load_dwordx4 s[48:51], s[4:5], 0x0
	v_mov_b32_e32 v1, 0
	v_lshlrev_b32_e32 v13, 1, v0
	s_waitcnt lgkmcnt(0)
	global_load_ushort v3, v1, s[48:49]
	v_mov_b32_e32 v2, s49
	v_add_co_u32_e32 v1, vcc, s48, v13
	v_addc_co_u32_e32 v2, vcc, 0, v2, vcc
	v_cmp_gt_u32_e64 s[0:1], s50, v0
	s_waitcnt vmcnt(0)
	v_mov_b32_e32 v4, v3
	s_and_saveexec_b64 s[2:3], s[0:1]
	s_cbranch_execz .LBB86_2
; %bb.1:
	global_load_ushort v4, v[1:2], off
.LBB86_2:
	s_or_b64 exec, exec, s[2:3]
	v_or_b32_e32 v5, 0x100, v0
	v_cmp_gt_u32_e64 s[2:3], s50, v5
	v_mov_b32_e32 v5, v3
	s_and_saveexec_b64 s[6:7], s[2:3]
	s_cbranch_execz .LBB86_4
; %bb.3:
	global_load_ushort v5, v[1:2], off offset:512
.LBB86_4:
	s_or_b64 exec, exec, s[6:7]
	v_or_b32_e32 v6, 0x200, v0
	v_cmp_gt_u32_e64 s[22:23], s50, v6
	v_mov_b32_e32 v6, v3
	s_and_saveexec_b64 s[6:7], s[22:23]
	s_cbranch_execz .LBB86_6
; %bb.5:
	global_load_ushort v6, v[1:2], off offset:1024
.LBB86_6:
	;; [unrolled: 9-line block ×7, first 2 shown]
	s_or_b64 exec, exec, s[16:17]
	v_or_b32_e32 v12, 0x800, v0
	v_cmp_gt_u32_e64 s[16:17], s50, v12
	v_mov_b32_e32 v12, v3
	s_and_saveexec_b64 s[18:19], s[16:17]
	s_cbranch_execz .LBB86_18
; %bb.17:
	v_add_co_u32_e32 v14, vcc, 0x1000, v1
	v_addc_co_u32_e32 v15, vcc, 0, v2, vcc
	global_load_ushort v12, v[14:15], off
.LBB86_18:
	s_or_b64 exec, exec, s[18:19]
	v_or_b32_e32 v14, 0x900, v0
	v_cmp_gt_u32_e64 s[18:19], s50, v14
	v_mov_b32_e32 v14, v3
	s_and_saveexec_b64 s[20:21], s[18:19]
	s_cbranch_execz .LBB86_20
; %bb.19:
	v_add_co_u32_e32 v14, vcc, 0x1000, v1
	v_addc_co_u32_e32 v15, vcc, 0, v2, vcc
	global_load_ushort v14, v[14:15], off offset:512
.LBB86_20:
	s_or_b64 exec, exec, s[20:21]
	v_or_b32_e32 v15, 0xa00, v0
	v_cmp_gt_u32_e64 s[20:21], s50, v15
	v_mov_b32_e32 v15, v3
	s_and_saveexec_b64 s[24:25], s[20:21]
	s_cbranch_execz .LBB86_22
; %bb.21:
	v_add_co_u32_e32 v15, vcc, 0x1000, v1
	v_addc_co_u32_e32 v16, vcc, 0, v2, vcc
	global_load_ushort v15, v[15:16], off offset:1024
.LBB86_22:
	;; [unrolled: 11-line block ×7, first 2 shown]
	s_or_b64 exec, exec, s[36:37]
	v_or_b32_e32 v21, 0x1000, v0
	v_cmp_gt_u32_e64 s[36:37], s50, v21
	v_mov_b32_e32 v21, v3
	s_and_saveexec_b64 s[38:39], s[36:37]
	s_cbranch_execz .LBB86_34
; %bb.33:
	v_add_co_u32_e32 v21, vcc, 0x2000, v1
	v_addc_co_u32_e32 v22, vcc, 0, v2, vcc
	global_load_ushort v21, v[21:22], off
.LBB86_34:
	s_or_b64 exec, exec, s[38:39]
	v_or_b32_e32 v22, 0x1100, v0
	v_cmp_gt_u32_e64 s[38:39], s50, v22
	v_mov_b32_e32 v22, v3
	s_and_saveexec_b64 s[40:41], s[38:39]
	s_cbranch_execz .LBB86_36
; %bb.35:
	v_add_co_u32_e32 v22, vcc, 0x2000, v1
	v_addc_co_u32_e32 v23, vcc, 0, v2, vcc
	global_load_ushort v22, v[22:23], off offset:512
.LBB86_36:
	s_or_b64 exec, exec, s[40:41]
	v_or_b32_e32 v23, 0x1200, v0
	v_cmp_gt_u32_e64 s[40:41], s50, v23
	v_mov_b32_e32 v23, v3
	s_and_saveexec_b64 s[42:43], s[40:41]
	s_cbranch_execz .LBB86_38
; %bb.37:
	v_add_co_u32_e32 v23, vcc, 0x2000, v1
	v_addc_co_u32_e32 v24, vcc, 0, v2, vcc
	global_load_ushort v23, v[23:24], off offset:1024
.LBB86_38:
	;; [unrolled: 11-line block ×6, first 2 shown]
	s_or_b64 exec, exec, s[52:53]
	v_or_b32_e32 v28, 0x1700, v0
	v_cmp_gt_u32_e64 s[50:51], s50, v28
	s_and_saveexec_b64 s[52:53], s[50:51]
	s_cbranch_execz .LBB86_48
; %bb.47:
	v_add_co_u32_e32 v1, vcc, 0x2000, v1
	v_addc_co_u32_e32 v2, vcc, 0, v2, vcc
	global_load_ushort v3, v[1:2], off offset:3584
.LBB86_48:
	s_or_b64 exec, exec, s[52:53]
	s_waitcnt vmcnt(0)
	ds_write_b16 v13, v4
	ds_write_b16 v13, v5 offset:512
	ds_write_b16 v13, v6 offset:1024
	ds_write_b16 v13, v7 offset:1536
	ds_write_b16 v13, v8 offset:2048
	ds_write_b16 v13, v9 offset:2560
	ds_write_b16 v13, v10 offset:3072
	ds_write_b16 v13, v11 offset:3584
	ds_write_b16 v13, v12 offset:4096
	ds_write_b16 v13, v14 offset:4608
	ds_write_b16 v13, v15 offset:5120
	ds_write_b16 v13, v16 offset:5632
	ds_write_b16 v13, v17 offset:6144
	ds_write_b16 v13, v18 offset:6656
	ds_write_b16 v13, v19 offset:7168
	ds_write_b16 v13, v20 offset:7680
	ds_write_b16 v13, v21 offset:8192
	ds_write_b16 v13, v22 offset:8704
	ds_write_b16 v13, v23 offset:9216
	ds_write_b16 v13, v24 offset:9728
	ds_write_b16 v13, v25 offset:10240
	ds_write_b16 v13, v26 offset:10752
	ds_write_b16 v13, v27 offset:11264
	ds_write_b16 v13, v3 offset:11776
	v_mad_u32_u24 v5, v0, 46, v13
	s_waitcnt lgkmcnt(0)
	s_barrier
	ds_read_b128 v[1:4], v5
	ds_read_b128 v[9:12], v5 offset:16
	ds_read_b128 v[5:8], v5 offset:32
	v_lshrrev_b32_e32 v37, 4, v0
	v_and_b32_e32 v37, 14, v37
	s_waitcnt lgkmcnt(2)
	v_mul_f16_sdwa v14, v1, v1 dst_sel:DWORD dst_unused:UNUSED_PAD src0_sel:DWORD src1_sel:WORD_1
	v_mul_f16_e32 v15, v14, v2
	v_mul_f16_sdwa v17, v15, v2 dst_sel:DWORD dst_unused:UNUSED_PAD src0_sel:DWORD src1_sel:WORD_1
	v_mul_f16_e32 v19, v17, v3
	;; [unrolled: 2-line block ×3, first 2 shown]
	v_mul_f16_sdwa v27, v24, v4 dst_sel:DWORD dst_unused:UNUSED_PAD src0_sel:DWORD src1_sel:WORD_1
	s_waitcnt lgkmcnt(1)
	v_mul_f16_e32 v16, v27, v9
	v_mul_f16_sdwa v18, v16, v9 dst_sel:DWORD dst_unused:UNUSED_PAD src0_sel:DWORD src1_sel:WORD_1
	v_mul_f16_e32 v20, v18, v10
	v_mul_f16_sdwa v23, v20, v10 dst_sel:DWORD dst_unused:UNUSED_PAD src0_sel:DWORD src1_sel:WORD_1
	;; [unrolled: 2-line block ×4, first 2 shown]
	s_waitcnt lgkmcnt(0)
	v_mul_f16_e32 v22, v33, v5
	v_mul_f16_sdwa v25, v22, v5 dst_sel:DWORD dst_unused:UNUSED_PAD src0_sel:DWORD src1_sel:WORD_1
	v_mul_f16_e32 v28, v25, v6
	v_mul_f16_sdwa v30, v28, v6 dst_sel:DWORD dst_unused:UNUSED_PAD src0_sel:DWORD src1_sel:WORD_1
	;; [unrolled: 2-line block ×4, first 2 shown]
	v_add_u32_e32 v37, v13, v37
	v_cmp_gt_u32_e32 vcc, 64, v0
	s_barrier
	ds_write_b16 v37, v36
	s_waitcnt lgkmcnt(0)
	s_barrier
	s_and_saveexec_b64 s[52:53], vcc
	s_cbranch_execz .LBB86_50
; %bb.49:
	v_lshrrev_b32_e32 v37, 2, v0
	v_and_b32_e32 v37, 62, v37
	v_lshl_add_u32 v39, v0, 3, v37
	ds_read_b64 v[37:38], v39
	v_mbcnt_lo_u32_b32 v40, -1, 0
	v_mbcnt_hi_u32_b32 v40, -1, v40
	v_and_b32_e32 v41, 15, v40
	v_cmp_eq_u32_e32 vcc, 0, v41
	s_waitcnt lgkmcnt(0)
	v_mul_f16_sdwa v42, v37, v37 dst_sel:DWORD dst_unused:UNUSED_PAD src0_sel:DWORD src1_sel:WORD_1
	v_mul_f16_e32 v42, v42, v38
	v_mul_f16_sdwa v42, v42, v38 dst_sel:DWORD dst_unused:UNUSED_PAD src0_sel:DWORD src1_sel:WORD_1
	s_mov_b32 s33, 0x5040100
	s_nop 0
	v_mov_b32_dpp v43, v42 row_shr:1 row_mask:0xf bank_mask:0xf
	v_mul_f16_e32 v43, v42, v43
	v_cndmask_b32_e32 v42, v43, v42, vcc
	v_and_b32_e32 v43, 0xffff, v42
	v_cmp_lt_u32_e32 vcc, 1, v41
	s_nop 0
	v_mov_b32_dpp v43, v43 row_shr:2 row_mask:0xf bank_mask:0xf
	v_mul_f16_e32 v43, v42, v43
	v_cndmask_b32_e32 v42, v42, v43, vcc
	v_and_b32_e32 v43, 0xffff, v42
	v_cmp_lt_u32_e32 vcc, 3, v41
	;; [unrolled: 6-line block ×3, first 2 shown]
	s_nop 0
	v_mov_b32_dpp v43, v43 row_shr:8 row_mask:0xf bank_mask:0xf
	v_mul_f16_e32 v43, v42, v43
	v_cndmask_b32_e32 v41, v42, v43, vcc
	v_and_b32_e32 v42, 0xffff, v41
	v_and_b32_e32 v43, 16, v40
	v_cmp_eq_u32_e32 vcc, 0, v43
	v_mov_b32_dpp v42, v42 row_bcast:15 row_mask:0xf bank_mask:0xf
	v_mul_f16_e32 v42, v41, v42
	v_cndmask_b32_e32 v41, v42, v41, vcc
	v_and_b32_e32 v42, 0xffff, v41
	v_cmp_lt_u32_e32 vcc, 31, v40
	v_and_b32_e32 v43, 64, v40
	v_mov_b32_dpp v42, v42 row_bcast:31 row_mask:0xf bank_mask:0xf
	v_mul_f16_e32 v42, v41, v42
	v_cndmask_b32_e32 v41, v41, v42, vcc
	v_add_u32_e32 v42, -1, v40
	v_cmp_lt_i32_e32 vcc, v42, v43
	v_cndmask_b32_e32 v40, v42, v40, vcc
	v_lshlrev_b32_e32 v40, 2, v40
	v_and_b32_e32 v41, 0xffff, v41
	ds_bpermute_b32 v40, v40, v41
	v_cmp_eq_u32_e32 vcc, 0, v0
	s_waitcnt lgkmcnt(0)
	v_mul_f16_e32 v40, v37, v40
	v_cndmask_b32_e32 v40, v40, v36, vcc
	v_mul_f16_sdwa v37, v37, v40 dst_sel:DWORD dst_unused:UNUSED_PAD src0_sel:WORD_1 src1_sel:DWORD
	v_mul_f16_e32 v41, v38, v37
	v_mul_f16_sdwa v38, v38, v41 dst_sel:DWORD dst_unused:UNUSED_PAD src0_sel:WORD_1 src1_sel:DWORD
	v_perm_b32 v37, v37, v40, s33
	v_pack_b32_f16 v38, v41, v38
	ds_write_b64 v39, v[37:38]
.LBB86_50:
	s_or_b64 exec, exec, s[52:53]
	v_mul_u32_u24_e32 v37, 46, v0
	v_cmp_ne_u32_e32 vcc, 0, v0
	s_waitcnt lgkmcnt(0)
	s_barrier
	s_and_saveexec_b64 s[52:53], vcc
	s_cbranch_execz .LBB86_52
; %bb.51:
	v_add_u32_e32 v0, -1, v0
	v_lshrrev_b32_e32 v14, 4, v0
	v_and_b32_e32 v14, 0xffffffe, v14
	v_lshl_add_u32 v0, v0, 1, v14
	ds_read_u16 v0, v0
	s_waitcnt lgkmcnt(0)
	v_mul_f16_e32 v0, v1, v0
	v_mul_f16_sdwa v14, v1, v0 dst_sel:DWORD dst_unused:UNUSED_PAD src0_sel:WORD_1 src1_sel:DWORD
	v_mul_f16_e32 v15, v2, v14
	v_mul_f16_sdwa v17, v2, v15 dst_sel:DWORD dst_unused:UNUSED_PAD src0_sel:WORD_1 src1_sel:DWORD
	;; [unrolled: 2-line block ×12, first 2 shown]
	v_mov_b32_e32 v1, v0
.LBB86_52:
	s_or_b64 exec, exec, s[52:53]
	s_mov_b32 s33, 0x5040100
	v_add_u32_e32 v5, v13, v37
	v_perm_b32 v4, v27, v24, s33
	v_perm_b32 v3, v21, v19, s33
	v_perm_b32 v2, v17, v15, s33
	v_perm_b32 v1, v14, v1, s33
	s_barrier
	ds_write_b128 v5, v[1:4]
	v_perm_b32 v3, v33, v31, s33
	v_perm_b32 v2, v29, v26, s33
	;; [unrolled: 1-line block ×4, first 2 shown]
	ds_write_b128 v5, v[0:3] offset:16
	v_perm_b32 v3, v36, v35, s33
	v_perm_b32 v2, v34, v32, s33
	;; [unrolled: 1-line block ×4, first 2 shown]
	ds_write_b128 v5, v[0:3] offset:32
	s_waitcnt lgkmcnt(0)
	s_barrier
	ds_read_u16 v25, v13 offset:512
	ds_read_u16 v24, v13 offset:1024
	;; [unrolled: 1-line block ×23, first 2 shown]
	s_load_dwordx2 s[4:5], s[4:5], 0x18
	s_waitcnt lgkmcnt(0)
	v_mov_b32_e32 v1, s5
	v_add_co_u32_e32 v0, vcc, s4, v13
	v_addc_co_u32_e32 v1, vcc, 0, v1, vcc
	s_and_saveexec_b64 s[4:5], s[0:1]
	s_cbranch_execnz .LBB86_77
; %bb.53:
	s_or_b64 exec, exec, s[4:5]
	s_and_saveexec_b64 s[0:1], s[2:3]
	s_cbranch_execnz .LBB86_78
.LBB86_54:
	s_or_b64 exec, exec, s[0:1]
	s_and_saveexec_b64 s[0:1], s[22:23]
	s_cbranch_execnz .LBB86_79
.LBB86_55:
	s_or_b64 exec, exec, s[0:1]
	s_and_saveexec_b64 s[0:1], s[6:7]
	s_cbranch_execnz .LBB86_80
.LBB86_56:
	s_or_b64 exec, exec, s[0:1]
	s_and_saveexec_b64 s[0:1], s[8:9]
	s_cbranch_execnz .LBB86_81
.LBB86_57:
	s_or_b64 exec, exec, s[0:1]
	s_and_saveexec_b64 s[0:1], s[10:11]
	s_cbranch_execnz .LBB86_82
.LBB86_58:
	s_or_b64 exec, exec, s[0:1]
	s_and_saveexec_b64 s[0:1], s[12:13]
	s_cbranch_execnz .LBB86_83
.LBB86_59:
	s_or_b64 exec, exec, s[0:1]
	s_and_saveexec_b64 s[0:1], s[14:15]
	s_cbranch_execnz .LBB86_84
.LBB86_60:
	s_or_b64 exec, exec, s[0:1]
	s_and_saveexec_b64 s[0:1], s[16:17]
	s_cbranch_execnz .LBB86_85
.LBB86_61:
	s_or_b64 exec, exec, s[0:1]
	s_and_saveexec_b64 s[0:1], s[18:19]
	s_cbranch_execnz .LBB86_86
.LBB86_62:
	s_or_b64 exec, exec, s[0:1]
	s_and_saveexec_b64 s[0:1], s[20:21]
	s_cbranch_execnz .LBB86_87
.LBB86_63:
	s_or_b64 exec, exec, s[0:1]
	s_and_saveexec_b64 s[0:1], s[24:25]
	s_cbranch_execnz .LBB86_88
.LBB86_64:
	s_or_b64 exec, exec, s[0:1]
	s_and_saveexec_b64 s[0:1], s[26:27]
	s_cbranch_execnz .LBB86_89
.LBB86_65:
	s_or_b64 exec, exec, s[0:1]
	s_and_saveexec_b64 s[0:1], s[28:29]
	s_cbranch_execnz .LBB86_90
.LBB86_66:
	s_or_b64 exec, exec, s[0:1]
	s_and_saveexec_b64 s[0:1], s[30:31]
	s_cbranch_execnz .LBB86_91
.LBB86_67:
	s_or_b64 exec, exec, s[0:1]
	s_and_saveexec_b64 s[0:1], s[34:35]
	s_cbranch_execnz .LBB86_92
.LBB86_68:
	s_or_b64 exec, exec, s[0:1]
	s_and_saveexec_b64 s[0:1], s[36:37]
	s_cbranch_execnz .LBB86_93
.LBB86_69:
	s_or_b64 exec, exec, s[0:1]
	s_and_saveexec_b64 s[0:1], s[38:39]
	s_cbranch_execnz .LBB86_94
.LBB86_70:
	s_or_b64 exec, exec, s[0:1]
	s_and_saveexec_b64 s[0:1], s[40:41]
	s_cbranch_execnz .LBB86_95
.LBB86_71:
	s_or_b64 exec, exec, s[0:1]
	s_and_saveexec_b64 s[0:1], s[42:43]
	s_cbranch_execnz .LBB86_96
.LBB86_72:
	s_or_b64 exec, exec, s[0:1]
	s_and_saveexec_b64 s[0:1], s[44:45]
	s_cbranch_execnz .LBB86_97
.LBB86_73:
	s_or_b64 exec, exec, s[0:1]
	s_and_saveexec_b64 s[0:1], s[46:47]
	s_cbranch_execnz .LBB86_98
.LBB86_74:
	s_or_b64 exec, exec, s[0:1]
	s_and_saveexec_b64 s[0:1], s[48:49]
	s_cbranch_execnz .LBB86_99
.LBB86_75:
	s_or_b64 exec, exec, s[0:1]
	s_and_saveexec_b64 s[0:1], s[50:51]
	s_cbranch_execnz .LBB86_100
.LBB86_76:
	s_endpgm
.LBB86_77:
	ds_read_u16 v13, v13
	s_waitcnt lgkmcnt(0)
	global_store_short v[0:1], v13, off
	s_or_b64 exec, exec, s[4:5]
	s_and_saveexec_b64 s[0:1], s[2:3]
	s_cbranch_execz .LBB86_54
.LBB86_78:
	global_store_short v[0:1], v25, off offset:512
	s_or_b64 exec, exec, s[0:1]
	s_and_saveexec_b64 s[0:1], s[22:23]
	s_cbranch_execz .LBB86_55
.LBB86_79:
	global_store_short v[0:1], v24, off offset:1024
	s_or_b64 exec, exec, s[0:1]
	s_and_saveexec_b64 s[0:1], s[6:7]
	s_cbranch_execz .LBB86_56
.LBB86_80:
	global_store_short v[0:1], v23, off offset:1536
	s_or_b64 exec, exec, s[0:1]
	s_and_saveexec_b64 s[0:1], s[8:9]
	s_cbranch_execz .LBB86_57
.LBB86_81:
	global_store_short v[0:1], v22, off offset:2048
	s_or_b64 exec, exec, s[0:1]
	s_and_saveexec_b64 s[0:1], s[10:11]
	s_cbranch_execz .LBB86_58
.LBB86_82:
	global_store_short v[0:1], v21, off offset:2560
	s_or_b64 exec, exec, s[0:1]
	s_and_saveexec_b64 s[0:1], s[12:13]
	s_cbranch_execz .LBB86_59
.LBB86_83:
	global_store_short v[0:1], v20, off offset:3072
	s_or_b64 exec, exec, s[0:1]
	s_and_saveexec_b64 s[0:1], s[14:15]
	s_cbranch_execz .LBB86_60
.LBB86_84:
	global_store_short v[0:1], v19, off offset:3584
	s_or_b64 exec, exec, s[0:1]
	s_and_saveexec_b64 s[0:1], s[16:17]
	s_cbranch_execz .LBB86_61
.LBB86_85:
	v_add_co_u32_e32 v19, vcc, 0x1000, v0
	v_addc_co_u32_e32 v20, vcc, 0, v1, vcc
	global_store_short v[19:20], v18, off
	s_or_b64 exec, exec, s[0:1]
	s_and_saveexec_b64 s[0:1], s[18:19]
	s_cbranch_execz .LBB86_62
.LBB86_86:
	v_add_co_u32_e32 v18, vcc, 0x1000, v0
	v_addc_co_u32_e32 v19, vcc, 0, v1, vcc
	global_store_short v[18:19], v17, off offset:512
	s_or_b64 exec, exec, s[0:1]
	s_and_saveexec_b64 s[0:1], s[20:21]
	s_cbranch_execz .LBB86_63
.LBB86_87:
	v_add_co_u32_e32 v17, vcc, 0x1000, v0
	v_addc_co_u32_e32 v18, vcc, 0, v1, vcc
	global_store_short v[17:18], v16, off offset:1024
	s_or_b64 exec, exec, s[0:1]
	s_and_saveexec_b64 s[0:1], s[24:25]
	s_cbranch_execz .LBB86_64
.LBB86_88:
	v_add_co_u32_e32 v16, vcc, 0x1000, v0
	v_addc_co_u32_e32 v17, vcc, 0, v1, vcc
	global_store_short v[16:17], v15, off offset:1536
	s_or_b64 exec, exec, s[0:1]
	s_and_saveexec_b64 s[0:1], s[26:27]
	s_cbranch_execz .LBB86_65
.LBB86_89:
	v_add_co_u32_e32 v15, vcc, 0x1000, v0
	v_addc_co_u32_e32 v16, vcc, 0, v1, vcc
	global_store_short v[15:16], v14, off offset:2048
	s_or_b64 exec, exec, s[0:1]
	s_and_saveexec_b64 s[0:1], s[28:29]
	s_cbranch_execz .LBB86_66
.LBB86_90:
	v_add_co_u32_e32 v13, vcc, 0x1000, v0
	v_addc_co_u32_e32 v14, vcc, 0, v1, vcc
	global_store_short v[13:14], v12, off offset:2560
	s_or_b64 exec, exec, s[0:1]
	s_and_saveexec_b64 s[0:1], s[30:31]
	s_cbranch_execz .LBB86_67
.LBB86_91:
	v_add_co_u32_e32 v12, vcc, 0x1000, v0
	v_addc_co_u32_e32 v13, vcc, 0, v1, vcc
	global_store_short v[12:13], v11, off offset:3072
	s_or_b64 exec, exec, s[0:1]
	s_and_saveexec_b64 s[0:1], s[34:35]
	s_cbranch_execz .LBB86_68
.LBB86_92:
	v_add_co_u32_e32 v11, vcc, 0x1000, v0
	v_addc_co_u32_e32 v12, vcc, 0, v1, vcc
	global_store_short v[11:12], v10, off offset:3584
	s_or_b64 exec, exec, s[0:1]
	s_and_saveexec_b64 s[0:1], s[36:37]
	s_cbranch_execz .LBB86_69
.LBB86_93:
	v_add_co_u32_e32 v10, vcc, 0x2000, v0
	v_addc_co_u32_e32 v11, vcc, 0, v1, vcc
	global_store_short v[10:11], v9, off
	s_or_b64 exec, exec, s[0:1]
	s_and_saveexec_b64 s[0:1], s[38:39]
	s_cbranch_execz .LBB86_70
.LBB86_94:
	v_add_co_u32_e32 v9, vcc, 0x2000, v0
	v_addc_co_u32_e32 v10, vcc, 0, v1, vcc
	global_store_short v[9:10], v8, off offset:512
	s_or_b64 exec, exec, s[0:1]
	s_and_saveexec_b64 s[0:1], s[40:41]
	s_cbranch_execz .LBB86_71
.LBB86_95:
	v_add_co_u32_e32 v8, vcc, 0x2000, v0
	v_addc_co_u32_e32 v9, vcc, 0, v1, vcc
	global_store_short v[8:9], v7, off offset:1024
	s_or_b64 exec, exec, s[0:1]
	s_and_saveexec_b64 s[0:1], s[42:43]
	s_cbranch_execz .LBB86_72
.LBB86_96:
	v_add_co_u32_e32 v7, vcc, 0x2000, v0
	v_addc_co_u32_e32 v8, vcc, 0, v1, vcc
	global_store_short v[7:8], v6, off offset:1536
	s_or_b64 exec, exec, s[0:1]
	s_and_saveexec_b64 s[0:1], s[44:45]
	s_cbranch_execz .LBB86_73
.LBB86_97:
	v_add_co_u32_e32 v6, vcc, 0x2000, v0
	v_addc_co_u32_e32 v7, vcc, 0, v1, vcc
	global_store_short v[6:7], v5, off offset:2048
	s_or_b64 exec, exec, s[0:1]
	s_and_saveexec_b64 s[0:1], s[46:47]
	s_cbranch_execz .LBB86_74
.LBB86_98:
	v_add_co_u32_e32 v5, vcc, 0x2000, v0
	v_addc_co_u32_e32 v6, vcc, 0, v1, vcc
	global_store_short v[5:6], v4, off offset:2560
	s_or_b64 exec, exec, s[0:1]
	s_and_saveexec_b64 s[0:1], s[48:49]
	s_cbranch_execz .LBB86_75
.LBB86_99:
	v_add_co_u32_e32 v4, vcc, 0x2000, v0
	v_addc_co_u32_e32 v5, vcc, 0, v1, vcc
	global_store_short v[4:5], v3, off offset:3072
	s_or_b64 exec, exec, s[0:1]
	s_and_saveexec_b64 s[0:1], s[50:51]
	s_cbranch_execz .LBB86_76
.LBB86_100:
	v_add_co_u32_e32 v0, vcc, 0x2000, v0
	v_addc_co_u32_e32 v1, vcc, 0, v1, vcc
	global_store_short v[0:1], v2, off offset:3584
	s_endpgm
	.section	.rodata,"a",@progbits
	.p2align	6, 0x0
	.amdhsa_kernel _ZN7rocprim17ROCPRIM_304000_NS6detail18single_scan_kernelILb0ENS1_19wrapped_scan_configINS0_14default_configEN3c104HalfEEEPKS6_PS6_St10multipliesIS6_ES6_S6_EEvT1_mT4_T2_T3_
		.amdhsa_group_segment_fixed_size 12288
		.amdhsa_private_segment_fixed_size 0
		.amdhsa_kernarg_size 36
		.amdhsa_user_sgpr_count 6
		.amdhsa_user_sgpr_private_segment_buffer 1
		.amdhsa_user_sgpr_dispatch_ptr 0
		.amdhsa_user_sgpr_queue_ptr 0
		.amdhsa_user_sgpr_kernarg_segment_ptr 1
		.amdhsa_user_sgpr_dispatch_id 0
		.amdhsa_user_sgpr_flat_scratch_init 0
		.amdhsa_user_sgpr_private_segment_size 0
		.amdhsa_uses_dynamic_stack 0
		.amdhsa_system_sgpr_private_segment_wavefront_offset 0
		.amdhsa_system_sgpr_workgroup_id_x 1
		.amdhsa_system_sgpr_workgroup_id_y 0
		.amdhsa_system_sgpr_workgroup_id_z 0
		.amdhsa_system_sgpr_workgroup_info 0
		.amdhsa_system_vgpr_workitem_id 0
		.amdhsa_next_free_vgpr 44
		.amdhsa_next_free_sgpr 98
		.amdhsa_reserve_vcc 1
		.amdhsa_reserve_flat_scratch 0
		.amdhsa_float_round_mode_32 0
		.amdhsa_float_round_mode_16_64 0
		.amdhsa_float_denorm_mode_32 3
		.amdhsa_float_denorm_mode_16_64 3
		.amdhsa_dx10_clamp 1
		.amdhsa_ieee_mode 1
		.amdhsa_fp16_overflow 0
		.amdhsa_exception_fp_ieee_invalid_op 0
		.amdhsa_exception_fp_denorm_src 0
		.amdhsa_exception_fp_ieee_div_zero 0
		.amdhsa_exception_fp_ieee_overflow 0
		.amdhsa_exception_fp_ieee_underflow 0
		.amdhsa_exception_fp_ieee_inexact 0
		.amdhsa_exception_int_div_zero 0
	.end_amdhsa_kernel
	.section	.text._ZN7rocprim17ROCPRIM_304000_NS6detail18single_scan_kernelILb0ENS1_19wrapped_scan_configINS0_14default_configEN3c104HalfEEEPKS6_PS6_St10multipliesIS6_ES6_S6_EEvT1_mT4_T2_T3_,"axG",@progbits,_ZN7rocprim17ROCPRIM_304000_NS6detail18single_scan_kernelILb0ENS1_19wrapped_scan_configINS0_14default_configEN3c104HalfEEEPKS6_PS6_St10multipliesIS6_ES6_S6_EEvT1_mT4_T2_T3_,comdat
.Lfunc_end86:
	.size	_ZN7rocprim17ROCPRIM_304000_NS6detail18single_scan_kernelILb0ENS1_19wrapped_scan_configINS0_14default_configEN3c104HalfEEEPKS6_PS6_St10multipliesIS6_ES6_S6_EEvT1_mT4_T2_T3_, .Lfunc_end86-_ZN7rocprim17ROCPRIM_304000_NS6detail18single_scan_kernelILb0ENS1_19wrapped_scan_configINS0_14default_configEN3c104HalfEEEPKS6_PS6_St10multipliesIS6_ES6_S6_EEvT1_mT4_T2_T3_
                                        ; -- End function
	.set _ZN7rocprim17ROCPRIM_304000_NS6detail18single_scan_kernelILb0ENS1_19wrapped_scan_configINS0_14default_configEN3c104HalfEEEPKS6_PS6_St10multipliesIS6_ES6_S6_EEvT1_mT4_T2_T3_.num_vgpr, 44
	.set _ZN7rocprim17ROCPRIM_304000_NS6detail18single_scan_kernelILb0ENS1_19wrapped_scan_configINS0_14default_configEN3c104HalfEEEPKS6_PS6_St10multipliesIS6_ES6_S6_EEvT1_mT4_T2_T3_.num_agpr, 0
	.set _ZN7rocprim17ROCPRIM_304000_NS6detail18single_scan_kernelILb0ENS1_19wrapped_scan_configINS0_14default_configEN3c104HalfEEEPKS6_PS6_St10multipliesIS6_ES6_S6_EEvT1_mT4_T2_T3_.numbered_sgpr, 54
	.set _ZN7rocprim17ROCPRIM_304000_NS6detail18single_scan_kernelILb0ENS1_19wrapped_scan_configINS0_14default_configEN3c104HalfEEEPKS6_PS6_St10multipliesIS6_ES6_S6_EEvT1_mT4_T2_T3_.num_named_barrier, 0
	.set _ZN7rocprim17ROCPRIM_304000_NS6detail18single_scan_kernelILb0ENS1_19wrapped_scan_configINS0_14default_configEN3c104HalfEEEPKS6_PS6_St10multipliesIS6_ES6_S6_EEvT1_mT4_T2_T3_.private_seg_size, 0
	.set _ZN7rocprim17ROCPRIM_304000_NS6detail18single_scan_kernelILb0ENS1_19wrapped_scan_configINS0_14default_configEN3c104HalfEEEPKS6_PS6_St10multipliesIS6_ES6_S6_EEvT1_mT4_T2_T3_.uses_vcc, 1
	.set _ZN7rocprim17ROCPRIM_304000_NS6detail18single_scan_kernelILb0ENS1_19wrapped_scan_configINS0_14default_configEN3c104HalfEEEPKS6_PS6_St10multipliesIS6_ES6_S6_EEvT1_mT4_T2_T3_.uses_flat_scratch, 0
	.set _ZN7rocprim17ROCPRIM_304000_NS6detail18single_scan_kernelILb0ENS1_19wrapped_scan_configINS0_14default_configEN3c104HalfEEEPKS6_PS6_St10multipliesIS6_ES6_S6_EEvT1_mT4_T2_T3_.has_dyn_sized_stack, 0
	.set _ZN7rocprim17ROCPRIM_304000_NS6detail18single_scan_kernelILb0ENS1_19wrapped_scan_configINS0_14default_configEN3c104HalfEEEPKS6_PS6_St10multipliesIS6_ES6_S6_EEvT1_mT4_T2_T3_.has_recursion, 0
	.set _ZN7rocprim17ROCPRIM_304000_NS6detail18single_scan_kernelILb0ENS1_19wrapped_scan_configINS0_14default_configEN3c104HalfEEEPKS6_PS6_St10multipliesIS6_ES6_S6_EEvT1_mT4_T2_T3_.has_indirect_call, 0
	.section	.AMDGPU.csdata,"",@progbits
; Kernel info:
; codeLenInByte = 3500
; TotalNumSgprs: 58
; NumVgprs: 44
; ScratchSize: 0
; MemoryBound: 0
; FloatMode: 240
; IeeeMode: 1
; LDSByteSize: 12288 bytes/workgroup (compile time only)
; SGPRBlocks: 12
; VGPRBlocks: 10
; NumSGPRsForWavesPerEU: 102
; NumVGPRsForWavesPerEU: 44
; Occupancy: 5
; WaveLimiterHint : 0
; COMPUTE_PGM_RSRC2:SCRATCH_EN: 0
; COMPUTE_PGM_RSRC2:USER_SGPR: 6
; COMPUTE_PGM_RSRC2:TRAP_HANDLER: 0
; COMPUTE_PGM_RSRC2:TGID_X_EN: 1
; COMPUTE_PGM_RSRC2:TGID_Y_EN: 0
; COMPUTE_PGM_RSRC2:TGID_Z_EN: 0
; COMPUTE_PGM_RSRC2:TIDIG_COMP_CNT: 0
	.section	.text._ZN2at6native32tensor_kernel_scan_innermost_dimIN3c104HalfESt10multipliesIS3_EEEvPT_PKS6_jjjS6_T0_,"axG",@progbits,_ZN2at6native32tensor_kernel_scan_innermost_dimIN3c104HalfESt10multipliesIS3_EEEvPT_PKS6_jjjS6_T0_,comdat
	.protected	_ZN2at6native32tensor_kernel_scan_innermost_dimIN3c104HalfESt10multipliesIS3_EEEvPT_PKS6_jjjS6_T0_ ; -- Begin function _ZN2at6native32tensor_kernel_scan_innermost_dimIN3c104HalfESt10multipliesIS3_EEEvPT_PKS6_jjjS6_T0_
	.globl	_ZN2at6native32tensor_kernel_scan_innermost_dimIN3c104HalfESt10multipliesIS3_EEEvPT_PKS6_jjjS6_T0_
	.p2align	8
	.type	_ZN2at6native32tensor_kernel_scan_innermost_dimIN3c104HalfESt10multipliesIS3_EEEvPT_PKS6_jjjS6_T0_,@function
_ZN2at6native32tensor_kernel_scan_innermost_dimIN3c104HalfESt10multipliesIS3_EEEvPT_PKS6_jjjS6_T0_: ; @_ZN2at6native32tensor_kernel_scan_innermost_dimIN3c104HalfESt10multipliesIS3_EEEvPT_PKS6_jjjS6_T0_
; %bb.0:
	s_load_dwordx8 s[12:19], s[4:5], 0x0
	v_mov_b32_e32 v2, v1
	s_waitcnt lgkmcnt(0)
	s_lshl_b32 s7, 2, s18
	v_mul_lo_u32 v1, s7, v2
	s_mul_hi_u32 s0, s16, s17
	s_cmp_lg_u32 s0, 0
	s_mov_b64 s[0:1], -1
	v_lshl_add_u32 v10, v1, 1, 0
	s_cbranch_scc1 .LBB87_26
; %bb.1:
	s_load_dword s2, s[4:5], 0x2c
	s_add_u32 s0, s4, 32
	s_addc_u32 s1, s5, 0
	s_waitcnt lgkmcnt(0)
	s_lshr_b32 s2, s2, 16
	s_mul_i32 s24, s6, s2
	s_cmp_ge_u32 s24, s16
	s_cbranch_scc1 .LBB87_25
; %bb.2:
	s_load_dword s26, s[0:1], 0x0
	s_lshl_b32 s25, 1, s18
	s_cmp_lg_u32 s17, 0
	s_cselect_b64 s[8:9], -1, 0
	v_lshl_add_u32 v1, v0, 1, v10
	s_lshl_b32 s3, s7, 1
	v_cndmask_b32_e64 v3, 0, 1, s[8:9]
	v_lshl_add_u32 v7, s25, 1, v1
	v_cmp_eq_u32_e64 s[0:1], 0, v0
	v_add3_u32 v8, v10, s3, -2
	s_waitcnt lgkmcnt(0)
	s_mul_i32 s26, s26, s2
	s_add_i32 s27, s18, 1
	v_cmp_ne_u32_e64 s[2:3], 1, v3
	v_mov_b32_e32 v4, 0
	s_branch .LBB87_4
.LBB87_3:                               ;   in Loop: Header=BB87_4 Depth=1
	s_add_i32 s24, s24, s26
	s_cmp_ge_u32 s24, s16
	s_cbranch_scc1 .LBB87_25
.LBB87_4:                               ; =>This Loop Header: Depth=1
                                        ;     Child Loop BB87_7 Depth 2
                                        ;       Child Loop BB87_16 Depth 3
	s_and_b64 vcc, exec, s[2:3]
	s_cbranch_vccnz .LBB87_3
; %bb.5:                                ;   in Loop: Header=BB87_4 Depth=1
	v_add_u32_e32 v14, s24, v2
	v_mul_lo_u32 v3, v14, s17
	v_mov_b32_e32 v11, s15
	v_cmp_le_u32_e64 s[8:9], s16, v14
	s_mov_b32 s28, 0
	v_lshlrev_b64 v[5:6], 1, v[3:4]
	v_mov_b32_e32 v3, s13
	v_add_co_u32_e32 v9, vcc, s14, v5
	v_addc_co_u32_e32 v11, vcc, v11, v6, vcc
	v_add_co_u32_e32 v12, vcc, s12, v5
	v_addc_co_u32_e32 v13, vcc, v3, v6, vcc
	v_cmp_gt_u32_e32 vcc, s16, v14
	v_mov_b32_e32 v14, s19
	s_branch .LBB87_7
.LBB87_6:                               ;   in Loop: Header=BB87_7 Depth=2
	s_or_b64 exec, exec, s[20:21]
	ds_read_u16 v14, v8
	s_add_i32 s28, s28, s7
	s_cmp_ge_u32 s28, s17
	s_waitcnt vmcnt(0) lgkmcnt(0)
	s_barrier
	s_cbranch_scc1 .LBB87_3
.LBB87_7:                               ;   Parent Loop BB87_4 Depth=1
                                        ; =>  This Loop Header: Depth=2
                                        ;       Child Loop BB87_16 Depth 3
	v_add_u32_e32 v3, s28, v0
	v_add_u32_e32 v5, s25, v3
	s_and_saveexec_b64 s[20:21], vcc
	s_cbranch_execz .LBB87_14
; %bb.8:                                ;   in Loop: Header=BB87_7 Depth=2
	v_cmp_gt_u32_e64 s[10:11], s17, v3
	v_mov_b32_e32 v6, s19
	s_and_saveexec_b64 s[22:23], s[10:11]
	s_cbranch_execz .LBB87_10
; %bb.9:                                ;   in Loop: Header=BB87_7 Depth=2
	v_lshlrev_b64 v[15:16], 1, v[3:4]
	v_add_co_u32_e64 v15, s[10:11], v9, v15
	v_addc_co_u32_e64 v16, s[10:11], v11, v16, s[10:11]
	global_load_ushort v6, v[15:16], off
.LBB87_10:                              ;   in Loop: Header=BB87_7 Depth=2
	s_or_b64 exec, exec, s[22:23]
	s_waitcnt vmcnt(0)
	ds_write_b16 v1, v6
	v_cmp_gt_u32_e64 s[10:11], s17, v5
	v_mov_b32_e32 v6, s19
	s_and_saveexec_b64 s[22:23], s[10:11]
	s_cbranch_execz .LBB87_12
; %bb.11:                               ;   in Loop: Header=BB87_7 Depth=2
	v_mov_b32_e32 v6, v4
	v_lshlrev_b64 v[15:16], 1, v[5:6]
	v_add_co_u32_e64 v15, s[10:11], v9, v15
	v_addc_co_u32_e64 v16, s[10:11], v11, v16, s[10:11]
	global_load_ushort v6, v[15:16], off
.LBB87_12:                              ;   in Loop: Header=BB87_7 Depth=2
	s_or_b64 exec, exec, s[22:23]
	s_waitcnt vmcnt(0)
	ds_write_b16 v7, v6
	s_and_b64 exec, exec, s[0:1]
	s_cbranch_execz .LBB87_14
; %bb.13:                               ;   in Loop: Header=BB87_7 Depth=2
	ds_read_u16 v6, v10
	s_waitcnt lgkmcnt(0)
	v_mul_f16_e32 v6, v6, v14
	ds_write_b16 v10, v6
.LBB87_14:                              ;   in Loop: Header=BB87_7 Depth=2
	s_or_b64 exec, exec, s[20:21]
	v_mov_b32_e32 v6, 0
	s_mov_b64 s[20:21], 0
	s_waitcnt lgkmcnt(0)
	s_barrier
	s_branch .LBB87_16
.LBB87_15:                              ;   in Loop: Header=BB87_16 Depth=3
	s_or_b64 exec, exec, s[10:11]
	v_cmp_eq_u32_e64 s[10:11], s27, v6
	s_or_b64 s[20:21], s[10:11], s[20:21]
	s_waitcnt lgkmcnt(0)
	s_barrier
	s_andn2_b64 exec, exec, s[20:21]
	s_cbranch_execz .LBB87_20
.LBB87_16:                              ;   Parent Loop BB87_4 Depth=1
                                        ;     Parent Loop BB87_7 Depth=2
                                        ; =>    This Inner Loop Header: Depth=3
	v_add_u32_e32 v14, 1, v6
	s_and_saveexec_b64 s[10:11], s[8:9]
	s_xor_b64 s[10:11], exec, s[10:11]
; %bb.17:                               ;   in Loop: Header=BB87_16 Depth=3
	v_add_u32_e32 v6, 1, v6
                                        ; implicit-def: $vgpr14
; %bb.18:                               ;   in Loop: Header=BB87_16 Depth=3
	s_andn2_saveexec_b64 s[10:11], s[10:11]
	s_cbranch_execz .LBB87_15
; %bb.19:                               ;   in Loop: Header=BB87_16 Depth=3
	v_lshlrev_b32_e64 v15, v6, 1
	v_lshrrev_b32_e32 v16, v6, v0
	v_lshl_or_b32 v15, v16, v14, v15
	v_bfm_b32 v6, v6, 0
	v_and_b32_e32 v6, v6, v0
	v_lshl_add_u32 v15, v15, 1, v10
	v_lshl_add_u32 v6, v6, 1, v15
	v_add_u32_e32 v15, -2, v15
	ds_read_u16 v16, v6
	ds_read_u16 v15, v15
	s_waitcnt lgkmcnt(0)
	v_mul_f16_e32 v15, v16, v15
	ds_write_b16 v6, v15
	v_mov_b32_e32 v6, v14
	s_branch .LBB87_15
.LBB87_20:                              ;   in Loop: Header=BB87_7 Depth=2
	s_or_b64 exec, exec, s[20:21]
	s_and_saveexec_b64 s[20:21], vcc
	s_cbranch_execz .LBB87_6
; %bb.21:                               ;   in Loop: Header=BB87_7 Depth=2
	v_cmp_gt_u32_e64 s[10:11], s17, v3
	s_and_saveexec_b64 s[22:23], s[10:11]
	s_cbranch_execz .LBB87_23
; %bb.22:                               ;   in Loop: Header=BB87_7 Depth=2
	v_lshlrev_b64 v[14:15], 1, v[3:4]
	ds_read_u16 v3, v1
	v_add_co_u32_e64 v14, s[10:11], v12, v14
	v_addc_co_u32_e64 v15, s[10:11], v13, v15, s[10:11]
	s_waitcnt lgkmcnt(0)
	global_store_short v[14:15], v3, off
.LBB87_23:                              ;   in Loop: Header=BB87_7 Depth=2
	s_or_b64 exec, exec, s[22:23]
	v_cmp_gt_u32_e64 s[10:11], s17, v5
	s_and_b64 exec, exec, s[10:11]
	s_cbranch_execz .LBB87_6
; %bb.24:                               ;   in Loop: Header=BB87_7 Depth=2
	v_mov_b32_e32 v6, v4
	ds_read_u16 v3, v7
	v_lshlrev_b64 v[5:6], 1, v[5:6]
	v_add_co_u32_e64 v5, s[10:11], v12, v5
	v_addc_co_u32_e64 v6, s[10:11], v13, v6, s[10:11]
	s_waitcnt lgkmcnt(0)
	global_store_short v[5:6], v3, off
	s_branch .LBB87_6
.LBB87_25:
	s_mov_b64 s[0:1], 0
.LBB87_26:
	s_andn2_b64 vcc, exec, s[0:1]
	s_cbranch_vccnz .LBB87_53
; %bb.27:
	s_load_dword s2, s[4:5], 0x2c
	s_add_u32 s0, s4, 32
	s_mov_b32 s8, s16
	s_mov_b32 s9, 0
	s_addc_u32 s1, s5, 0
	s_waitcnt lgkmcnt(0)
	s_lshr_b32 s2, s2, 16
	v_mov_b32_e32 v3, s8
	s_mul_hi_u32 s11, s2, s6
	s_mul_i32 s10, s2, s6
	v_mov_b32_e32 v4, s9
	v_cmp_ge_u64_e32 vcc, s[10:11], v[3:4]
	s_cbranch_vccnz .LBB87_53
; %bb.28:
	s_lshl_b32 s20, 1, s18
	s_load_dword s5, s[0:1], 0x0
	s_and_b32 s4, 0xffff, s2
	s_ashr_i32 s21, s20, 31
	s_cmp_lg_u32 s17, 0
	s_mov_b32 s22, s17
	s_cselect_b64 s[2:3], -1, 0
	s_lshl_b64 s[16:17], s[20:21], 1
	v_lshl_add_u32 v11, v0, 1, v10
	s_lshl_b32 s6, s16, 1
	v_cndmask_b32_e64 v3, 0, 1, s[2:3]
	v_mov_b32_e32 v1, 0
	s_mov_b32 s23, s9
	v_lshl_add_u32 v12, s20, 1, v11
	v_cmp_eq_u32_e64 s[0:1], 0, v0
	v_add3_u32 v13, v10, s6, -2
	s_waitcnt lgkmcnt(0)
	s_mul_i32 s33, s5, s4
	s_add_i32 s18, s18, 1
	v_cmp_ne_u32_e64 s[2:3], 1, v3
	s_branch .LBB87_30
.LBB87_29:                              ;   in Loop: Header=BB87_30 Depth=1
	s_add_u32 s10, s10, s33
	v_mov_b32_e32 v3, s8
	s_addc_u32 s11, s11, 0
	v_mov_b32_e32 v4, s9
	v_cmp_ge_u64_e32 vcc, s[10:11], v[3:4]
	s_cbranch_vccnz .LBB87_53
.LBB87_30:                              ; =>This Loop Header: Depth=1
                                        ;     Child Loop BB87_33 Depth 2
                                        ;       Child Loop BB87_43 Depth 3
	s_and_b64 vcc, exec, s[2:3]
	s_cbranch_vccnz .LBB87_29
; %bb.31:                               ;   in Loop: Header=BB87_30 Depth=1
	v_add_co_u32_e32 v3, vcc, s10, v2
	v_mad_u64_u32 v[5:6], s[4:5], v3, s22, 0
	v_mov_b32_e32 v4, s11
	v_addc_co_u32_e32 v4, vcc, 0, v4, vcc
	v_mad_u64_u32 v[6:7], s[4:5], v4, s22, v[6:7]
	v_mov_b32_e32 v7, s15
	v_cmp_gt_u64_e64 s[4:5], s[8:9], v[3:4]
	v_lshlrev_b64 v[5:6], 1, v[5:6]
	v_cmp_le_u64_e64 s[6:7], s[8:9], v[3:4]
	v_add_co_u32_e32 v14, vcc, s14, v5
	v_addc_co_u32_e32 v15, vcc, v7, v6, vcc
	v_mov_b32_e32 v7, s13
	v_add_co_u32_e32 v16, vcc, s12, v5
	v_addc_co_u32_e32 v17, vcc, v7, v6, vcc
	s_mov_b64 s[24:25], 0
	v_mov_b32_e32 v7, s19
	s_branch .LBB87_33
.LBB87_32:                              ;   in Loop: Header=BB87_33 Depth=2
	s_or_b64 exec, exec, s[26:27]
	ds_read_u16 v7, v13
	s_add_u32 s24, s24, s16
	v_mov_b32_e32 v3, s22
	s_addc_u32 s25, s25, s17
	v_mov_b32_e32 v4, s23
	v_cmp_ge_u64_e32 vcc, s[24:25], v[3:4]
	s_waitcnt lgkmcnt(0)
	s_waitcnt vmcnt(0)
	s_barrier
	s_cbranch_vccnz .LBB87_29
.LBB87_33:                              ;   Parent Loop BB87_30 Depth=1
                                        ; =>  This Loop Header: Depth=2
                                        ;       Child Loop BB87_43 Depth 3
	v_mov_b32_e32 v3, s25
	v_add_co_u32_e32 v5, vcc, s24, v0
	v_addc_co_u32_e32 v6, vcc, 0, v3, vcc
	v_mov_b32_e32 v4, s21
	v_add_co_u32_e32 v3, vcc, s20, v5
	v_addc_co_u32_e32 v4, vcc, v6, v4, vcc
	s_and_saveexec_b64 s[26:27], s[4:5]
	s_cbranch_execz .LBB87_40
; %bb.34:                               ;   in Loop: Header=BB87_33 Depth=2
	v_cmp_gt_u64_e32 vcc, s[22:23], v[5:6]
	v_mov_b32_e32 v8, s19
	s_and_saveexec_b64 s[28:29], vcc
	s_cbranch_execz .LBB87_36
; %bb.35:                               ;   in Loop: Header=BB87_33 Depth=2
	v_lshlrev_b64 v[8:9], 1, v[5:6]
	v_add_co_u32_e32 v8, vcc, v14, v8
	v_addc_co_u32_e32 v9, vcc, v15, v9, vcc
	global_load_ushort v8, v[8:9], off
.LBB87_36:                              ;   in Loop: Header=BB87_33 Depth=2
	s_or_b64 exec, exec, s[28:29]
	v_cmp_gt_u64_e32 vcc, s[22:23], v[3:4]
	s_waitcnt vmcnt(0)
	ds_write_b16 v11, v8
	v_mov_b32_e32 v8, s19
	s_and_saveexec_b64 s[28:29], vcc
	s_cbranch_execz .LBB87_38
; %bb.37:                               ;   in Loop: Header=BB87_33 Depth=2
	v_lshlrev_b64 v[8:9], 1, v[3:4]
	v_add_co_u32_e32 v8, vcc, v14, v8
	v_addc_co_u32_e32 v9, vcc, v15, v9, vcc
	global_load_ushort v8, v[8:9], off
.LBB87_38:                              ;   in Loop: Header=BB87_33 Depth=2
	s_or_b64 exec, exec, s[28:29]
	s_waitcnt vmcnt(0)
	ds_write_b16 v12, v8
	s_and_b64 exec, exec, s[0:1]
	s_cbranch_execz .LBB87_40
; %bb.39:                               ;   in Loop: Header=BB87_33 Depth=2
	ds_read_u16 v8, v10
	s_waitcnt lgkmcnt(0)
	v_mul_f16_e32 v7, v8, v7
	ds_write_b16 v10, v7
.LBB87_40:                              ;   in Loop: Header=BB87_33 Depth=2
	s_or_b64 exec, exec, s[26:27]
	v_mov_b32_e32 v19, 0
	s_mov_b64 s[26:27], 0
	s_waitcnt lgkmcnt(0)
	s_barrier
	s_branch .LBB87_43
.LBB87_41:                              ;   in Loop: Header=BB87_43 Depth=3
	s_or_b64 exec, exec, s[30:31]
	v_lshrrev_b32_e32 v9, v19, v0
	v_lshl_or_b32 v7, v9, v18, v7
	v_lshl_add_u32 v7, v7, 1, v10
	v_lshl_add_u32 v8, v8, 1, v7
	v_add_u32_e32 v7, -2, v7
	ds_read_u16 v9, v8
	ds_read_u16 v7, v7
	s_waitcnt lgkmcnt(0)
	v_mul_f16_e32 v7, v9, v7
	ds_write_b16 v8, v7
.LBB87_42:                              ;   in Loop: Header=BB87_43 Depth=3
	s_or_b64 exec, exec, s[28:29]
	v_cmp_eq_u32_e32 vcc, s18, v18
	s_or_b64 s[26:27], vcc, s[26:27]
	v_mov_b32_e32 v19, v18
	s_waitcnt lgkmcnt(0)
	s_barrier
	s_andn2_b64 exec, exec, s[26:27]
	s_cbranch_execz .LBB87_48
.LBB87_43:                              ;   Parent Loop BB87_30 Depth=1
                                        ;     Parent Loop BB87_33 Depth=2
                                        ; =>    This Inner Loop Header: Depth=3
	v_add_u32_e32 v18, 1, v19
	s_and_saveexec_b64 s[28:29], s[6:7]
	s_xor_b64 s[28:29], exec, s[28:29]
; %bb.44:                               ;   in Loop: Header=BB87_43 Depth=3
	v_add_u32_e32 v18, 1, v19
                                        ; implicit-def: $vgpr19
; %bb.45:                               ;   in Loop: Header=BB87_43 Depth=3
	s_andn2_saveexec_b64 s[28:29], s[28:29]
	s_cbranch_execz .LBB87_42
; %bb.46:                               ;   in Loop: Header=BB87_43 Depth=3
	v_lshlrev_b32_e64 v7, v19, 1
	v_ashrrev_i32_e32 v8, 31, v7
	v_cmp_ge_u64_e32 vcc, v[0:1], v[7:8]
	v_mov_b32_e32 v9, v1
	v_mov_b32_e32 v8, v0
	s_and_saveexec_b64 s[30:31], vcc
	s_cbranch_execz .LBB87_41
; %bb.47:                               ;   in Loop: Header=BB87_43 Depth=3
	v_cvt_f32_u32_e32 v8, v7
	v_sub_u32_e32 v9, 0, v7
	v_rcp_iflag_f32_e32 v8, v8
	v_mul_f32_e32 v8, 0x4f7ffffe, v8
	v_cvt_u32_f32_e32 v8, v8
	v_mul_lo_u32 v9, v9, v8
	v_mul_hi_u32 v9, v8, v9
	v_add_u32_e32 v8, v8, v9
	v_mul_hi_u32 v8, v0, v8
	v_mul_lo_u32 v8, v8, v7
	v_sub_u32_e32 v8, v0, v8
	v_sub_u32_e32 v9, v8, v7
	v_cmp_ge_u32_e32 vcc, v8, v7
	v_cndmask_b32_e32 v8, v8, v9, vcc
	v_sub_u32_e32 v9, v8, v7
	v_cmp_ge_u32_e32 vcc, v8, v7
	v_cndmask_b32_e32 v8, v8, v9, vcc
	s_branch .LBB87_41
.LBB87_48:                              ;   in Loop: Header=BB87_33 Depth=2
	s_or_b64 exec, exec, s[26:27]
	s_and_saveexec_b64 s[26:27], s[4:5]
	s_cbranch_execz .LBB87_32
; %bb.49:                               ;   in Loop: Header=BB87_33 Depth=2
	v_cmp_gt_u64_e32 vcc, s[22:23], v[5:6]
	s_and_saveexec_b64 s[28:29], vcc
	s_cbranch_execz .LBB87_51
; %bb.50:                               ;   in Loop: Header=BB87_33 Depth=2
	ds_read_u16 v7, v11
	v_lshlrev_b64 v[5:6], 1, v[5:6]
	v_add_co_u32_e32 v5, vcc, v16, v5
	v_addc_co_u32_e32 v6, vcc, v17, v6, vcc
	s_waitcnt lgkmcnt(0)
	global_store_short v[5:6], v7, off
.LBB87_51:                              ;   in Loop: Header=BB87_33 Depth=2
	s_or_b64 exec, exec, s[28:29]
	v_cmp_gt_u64_e32 vcc, s[22:23], v[3:4]
	s_and_b64 exec, exec, vcc
	s_cbranch_execz .LBB87_32
; %bb.52:                               ;   in Loop: Header=BB87_33 Depth=2
	ds_read_u16 v5, v12
	v_lshlrev_b64 v[3:4], 1, v[3:4]
	v_add_co_u32_e32 v3, vcc, v16, v3
	v_addc_co_u32_e32 v4, vcc, v17, v4, vcc
	s_waitcnt lgkmcnt(0)
	global_store_short v[3:4], v5, off
	s_branch .LBB87_32
.LBB87_53:
	s_endpgm
	.section	.rodata,"a",@progbits
	.p2align	6, 0x0
	.amdhsa_kernel _ZN2at6native32tensor_kernel_scan_innermost_dimIN3c104HalfESt10multipliesIS3_EEEvPT_PKS6_jjjS6_T0_
		.amdhsa_group_segment_fixed_size 0
		.amdhsa_private_segment_fixed_size 0
		.amdhsa_kernarg_size 288
		.amdhsa_user_sgpr_count 6
		.amdhsa_user_sgpr_private_segment_buffer 1
		.amdhsa_user_sgpr_dispatch_ptr 0
		.amdhsa_user_sgpr_queue_ptr 0
		.amdhsa_user_sgpr_kernarg_segment_ptr 1
		.amdhsa_user_sgpr_dispatch_id 0
		.amdhsa_user_sgpr_flat_scratch_init 0
		.amdhsa_user_sgpr_private_segment_size 0
		.amdhsa_uses_dynamic_stack 0
		.amdhsa_system_sgpr_private_segment_wavefront_offset 0
		.amdhsa_system_sgpr_workgroup_id_x 1
		.amdhsa_system_sgpr_workgroup_id_y 0
		.amdhsa_system_sgpr_workgroup_id_z 0
		.amdhsa_system_sgpr_workgroup_info 0
		.amdhsa_system_vgpr_workitem_id 1
		.amdhsa_next_free_vgpr 20
		.amdhsa_next_free_sgpr 34
		.amdhsa_reserve_vcc 1
		.amdhsa_reserve_flat_scratch 0
		.amdhsa_float_round_mode_32 0
		.amdhsa_float_round_mode_16_64 0
		.amdhsa_float_denorm_mode_32 3
		.amdhsa_float_denorm_mode_16_64 3
		.amdhsa_dx10_clamp 1
		.amdhsa_ieee_mode 1
		.amdhsa_fp16_overflow 0
		.amdhsa_exception_fp_ieee_invalid_op 0
		.amdhsa_exception_fp_denorm_src 0
		.amdhsa_exception_fp_ieee_div_zero 0
		.amdhsa_exception_fp_ieee_overflow 0
		.amdhsa_exception_fp_ieee_underflow 0
		.amdhsa_exception_fp_ieee_inexact 0
		.amdhsa_exception_int_div_zero 0
	.end_amdhsa_kernel
	.section	.text._ZN2at6native32tensor_kernel_scan_innermost_dimIN3c104HalfESt10multipliesIS3_EEEvPT_PKS6_jjjS6_T0_,"axG",@progbits,_ZN2at6native32tensor_kernel_scan_innermost_dimIN3c104HalfESt10multipliesIS3_EEEvPT_PKS6_jjjS6_T0_,comdat
.Lfunc_end87:
	.size	_ZN2at6native32tensor_kernel_scan_innermost_dimIN3c104HalfESt10multipliesIS3_EEEvPT_PKS6_jjjS6_T0_, .Lfunc_end87-_ZN2at6native32tensor_kernel_scan_innermost_dimIN3c104HalfESt10multipliesIS3_EEEvPT_PKS6_jjjS6_T0_
                                        ; -- End function
	.set _ZN2at6native32tensor_kernel_scan_innermost_dimIN3c104HalfESt10multipliesIS3_EEEvPT_PKS6_jjjS6_T0_.num_vgpr, 20
	.set _ZN2at6native32tensor_kernel_scan_innermost_dimIN3c104HalfESt10multipliesIS3_EEEvPT_PKS6_jjjS6_T0_.num_agpr, 0
	.set _ZN2at6native32tensor_kernel_scan_innermost_dimIN3c104HalfESt10multipliesIS3_EEEvPT_PKS6_jjjS6_T0_.numbered_sgpr, 34
	.set _ZN2at6native32tensor_kernel_scan_innermost_dimIN3c104HalfESt10multipliesIS3_EEEvPT_PKS6_jjjS6_T0_.num_named_barrier, 0
	.set _ZN2at6native32tensor_kernel_scan_innermost_dimIN3c104HalfESt10multipliesIS3_EEEvPT_PKS6_jjjS6_T0_.private_seg_size, 0
	.set _ZN2at6native32tensor_kernel_scan_innermost_dimIN3c104HalfESt10multipliesIS3_EEEvPT_PKS6_jjjS6_T0_.uses_vcc, 1
	.set _ZN2at6native32tensor_kernel_scan_innermost_dimIN3c104HalfESt10multipliesIS3_EEEvPT_PKS6_jjjS6_T0_.uses_flat_scratch, 0
	.set _ZN2at6native32tensor_kernel_scan_innermost_dimIN3c104HalfESt10multipliesIS3_EEEvPT_PKS6_jjjS6_T0_.has_dyn_sized_stack, 0
	.set _ZN2at6native32tensor_kernel_scan_innermost_dimIN3c104HalfESt10multipliesIS3_EEEvPT_PKS6_jjjS6_T0_.has_recursion, 0
	.set _ZN2at6native32tensor_kernel_scan_innermost_dimIN3c104HalfESt10multipliesIS3_EEEvPT_PKS6_jjjS6_T0_.has_indirect_call, 0
	.section	.AMDGPU.csdata,"",@progbits
; Kernel info:
; codeLenInByte = 1724
; TotalNumSgprs: 38
; NumVgprs: 20
; ScratchSize: 0
; MemoryBound: 0
; FloatMode: 240
; IeeeMode: 1
; LDSByteSize: 0 bytes/workgroup (compile time only)
; SGPRBlocks: 4
; VGPRBlocks: 4
; NumSGPRsForWavesPerEU: 38
; NumVGPRsForWavesPerEU: 20
; Occupancy: 10
; WaveLimiterHint : 0
; COMPUTE_PGM_RSRC2:SCRATCH_EN: 0
; COMPUTE_PGM_RSRC2:USER_SGPR: 6
; COMPUTE_PGM_RSRC2:TRAP_HANDLER: 0
; COMPUTE_PGM_RSRC2:TGID_X_EN: 1
; COMPUTE_PGM_RSRC2:TGID_Y_EN: 0
; COMPUTE_PGM_RSRC2:TGID_Z_EN: 0
; COMPUTE_PGM_RSRC2:TIDIG_COMP_CNT: 1
	.section	.text._ZN2at6native28tensor_kernel_scan_outer_dimIN3c104HalfEjSt10multipliesIS3_EEEvPT_PKS6_jjjS6_T1_,"axG",@progbits,_ZN2at6native28tensor_kernel_scan_outer_dimIN3c104HalfEjSt10multipliesIS3_EEEvPT_PKS6_jjjS6_T1_,comdat
	.protected	_ZN2at6native28tensor_kernel_scan_outer_dimIN3c104HalfEjSt10multipliesIS3_EEEvPT_PKS6_jjjS6_T1_ ; -- Begin function _ZN2at6native28tensor_kernel_scan_outer_dimIN3c104HalfEjSt10multipliesIS3_EEEvPT_PKS6_jjjS6_T1_
	.globl	_ZN2at6native28tensor_kernel_scan_outer_dimIN3c104HalfEjSt10multipliesIS3_EEEvPT_PKS6_jjjS6_T1_
	.p2align	8
	.type	_ZN2at6native28tensor_kernel_scan_outer_dimIN3c104HalfEjSt10multipliesIS3_EEEvPT_PKS6_jjjS6_T1_,@function
_ZN2at6native28tensor_kernel_scan_outer_dimIN3c104HalfEjSt10multipliesIS3_EEEvPT_PKS6_jjjS6_T1_: ; @_ZN2at6native28tensor_kernel_scan_outer_dimIN3c104HalfEjSt10multipliesIS3_EEEvPT_PKS6_jjjS6_T1_
; %bb.0:
	s_load_dwordx4 s[8:11], s[4:5], 0x10
	s_waitcnt lgkmcnt(0)
	s_cmp_ge_u32 s6, s8
	s_cbranch_scc1 .LBB88_9
; %bb.1:
	s_load_dword s0, s[4:5], 0x2c
	s_load_dwordx4 s[12:15], s[4:5], 0x0
	s_load_dword s28, s[4:5], 0x20
	s_add_u32 s16, s4, 32
	s_addc_u32 s17, s5, 0
	s_waitcnt lgkmcnt(0)
	s_and_b32 s29, s0, 0xffff
	s_cmp_lg_u32 s10, 0
	s_mul_i32 s7, s7, s29
	s_cselect_b64 s[2:3], -1, 0
	s_mul_i32 s4, s6, s10
	v_add_u32_e32 v2, s7, v0
	s_mov_b32 s19, 0
	s_mov_b32 s18, s9
	s_mul_i32 s4, s4, s9
	s_mul_i32 s7, s28, s10
	v_cndmask_b32_e64 v0, 0, 1, s[2:3]
	v_cmp_gt_u32_e64 s[0:1], s9, v2
	s_mul_i32 s7, s7, s9
	s_lshl_b64 s[20:21], s[18:19], 1
	v_cmp_ne_u32_e64 s[2:3], 1, v0
	v_mov_b32_e32 v1, 0
	s_mov_b32 s18, s4
	s_branch .LBB88_3
.LBB88_2:                               ;   in Loop: Header=BB88_3 Depth=1
	s_or_b64 exec, exec, s[22:23]
	s_add_i32 s6, s28, s6
	s_add_i32 s18, s18, s7
	s_cmp_ge_u32 s6, s8
	s_cbranch_scc1 .LBB88_9
.LBB88_3:                               ; =>This Loop Header: Depth=1
                                        ;     Child Loop BB88_6 Depth 2
                                        ;       Child Loop BB88_8 Depth 3
	s_and_saveexec_b64 s[22:23], s[0:1]
	s_cbranch_execz .LBB88_2
; %bb.4:                                ;   in Loop: Header=BB88_3 Depth=1
	s_load_dword s30, s[16:17], 0x4
	s_lshl_b64 s[24:25], s[18:19], 1
	s_mov_b64 s[26:27], 0
	v_mov_b32_e32 v0, v2
	s_waitcnt lgkmcnt(0)
	s_mul_i32 s30, s30, s29
	s_branch .LBB88_6
.LBB88_5:                               ;   in Loop: Header=BB88_6 Depth=2
	v_add_u32_e32 v0, s30, v0
	v_cmp_le_u32_e32 vcc, s9, v0
	s_or_b64 s[26:27], vcc, s[26:27]
	s_andn2_b64 exec, exec, s[26:27]
	s_cbranch_execz .LBB88_2
.LBB88_6:                               ;   Parent Loop BB88_3 Depth=1
                                        ; =>  This Loop Header: Depth=2
                                        ;       Child Loop BB88_8 Depth 3
	s_and_b64 vcc, exec, s[2:3]
	s_cbranch_vccnz .LBB88_5
; %bb.7:                                ;   in Loop: Header=BB88_6 Depth=2
	v_lshlrev_b64 v[3:4], 1, v[0:1]
	v_mov_b32_e32 v5, s25
	v_add_co_u32_e32 v3, vcc, s24, v3
	v_addc_co_u32_e32 v4, vcc, v5, v4, vcc
	v_mov_b32_e32 v5, s11
	s_mov_b32 s31, s10
.LBB88_8:                               ;   Parent Loop BB88_3 Depth=1
                                        ;     Parent Loop BB88_6 Depth=2
                                        ; =>    This Inner Loop Header: Depth=3
	v_mov_b32_e32 v7, s15
	v_add_co_u32_e32 v6, vcc, s14, v3
	v_addc_co_u32_e32 v7, vcc, v7, v4, vcc
	global_load_ushort v8, v[6:7], off
	v_mov_b32_e32 v7, s13
	v_add_co_u32_e32 v6, vcc, s12, v3
	s_add_i32 s31, s31, -1
	v_mov_b32_e32 v9, s21
	v_add_co_u32_e64 v3, s[4:5], s20, v3
	v_addc_co_u32_e32 v7, vcc, v7, v4, vcc
	v_addc_co_u32_e64 v4, vcc, v4, v9, s[4:5]
	s_cmp_eq_u32 s31, 0
	s_waitcnt vmcnt(0)
	v_mul_f16_e32 v5, v5, v8
	global_store_short v[6:7], v5, off
	s_cbranch_scc0 .LBB88_8
	s_branch .LBB88_5
.LBB88_9:
	s_endpgm
	.section	.rodata,"a",@progbits
	.p2align	6, 0x0
	.amdhsa_kernel _ZN2at6native28tensor_kernel_scan_outer_dimIN3c104HalfEjSt10multipliesIS3_EEEvPT_PKS6_jjjS6_T1_
		.amdhsa_group_segment_fixed_size 0
		.amdhsa_private_segment_fixed_size 0
		.amdhsa_kernarg_size 288
		.amdhsa_user_sgpr_count 6
		.amdhsa_user_sgpr_private_segment_buffer 1
		.amdhsa_user_sgpr_dispatch_ptr 0
		.amdhsa_user_sgpr_queue_ptr 0
		.amdhsa_user_sgpr_kernarg_segment_ptr 1
		.amdhsa_user_sgpr_dispatch_id 0
		.amdhsa_user_sgpr_flat_scratch_init 0
		.amdhsa_user_sgpr_private_segment_size 0
		.amdhsa_uses_dynamic_stack 0
		.amdhsa_system_sgpr_private_segment_wavefront_offset 0
		.amdhsa_system_sgpr_workgroup_id_x 1
		.amdhsa_system_sgpr_workgroup_id_y 1
		.amdhsa_system_sgpr_workgroup_id_z 0
		.amdhsa_system_sgpr_workgroup_info 0
		.amdhsa_system_vgpr_workitem_id 0
		.amdhsa_next_free_vgpr 10
		.amdhsa_next_free_sgpr 32
		.amdhsa_reserve_vcc 1
		.amdhsa_reserve_flat_scratch 0
		.amdhsa_float_round_mode_32 0
		.amdhsa_float_round_mode_16_64 0
		.amdhsa_float_denorm_mode_32 3
		.amdhsa_float_denorm_mode_16_64 3
		.amdhsa_dx10_clamp 1
		.amdhsa_ieee_mode 1
		.amdhsa_fp16_overflow 0
		.amdhsa_exception_fp_ieee_invalid_op 0
		.amdhsa_exception_fp_denorm_src 0
		.amdhsa_exception_fp_ieee_div_zero 0
		.amdhsa_exception_fp_ieee_overflow 0
		.amdhsa_exception_fp_ieee_underflow 0
		.amdhsa_exception_fp_ieee_inexact 0
		.amdhsa_exception_int_div_zero 0
	.end_amdhsa_kernel
	.section	.text._ZN2at6native28tensor_kernel_scan_outer_dimIN3c104HalfEjSt10multipliesIS3_EEEvPT_PKS6_jjjS6_T1_,"axG",@progbits,_ZN2at6native28tensor_kernel_scan_outer_dimIN3c104HalfEjSt10multipliesIS3_EEEvPT_PKS6_jjjS6_T1_,comdat
.Lfunc_end88:
	.size	_ZN2at6native28tensor_kernel_scan_outer_dimIN3c104HalfEjSt10multipliesIS3_EEEvPT_PKS6_jjjS6_T1_, .Lfunc_end88-_ZN2at6native28tensor_kernel_scan_outer_dimIN3c104HalfEjSt10multipliesIS3_EEEvPT_PKS6_jjjS6_T1_
                                        ; -- End function
	.set _ZN2at6native28tensor_kernel_scan_outer_dimIN3c104HalfEjSt10multipliesIS3_EEEvPT_PKS6_jjjS6_T1_.num_vgpr, 10
	.set _ZN2at6native28tensor_kernel_scan_outer_dimIN3c104HalfEjSt10multipliesIS3_EEEvPT_PKS6_jjjS6_T1_.num_agpr, 0
	.set _ZN2at6native28tensor_kernel_scan_outer_dimIN3c104HalfEjSt10multipliesIS3_EEEvPT_PKS6_jjjS6_T1_.numbered_sgpr, 32
	.set _ZN2at6native28tensor_kernel_scan_outer_dimIN3c104HalfEjSt10multipliesIS3_EEEvPT_PKS6_jjjS6_T1_.num_named_barrier, 0
	.set _ZN2at6native28tensor_kernel_scan_outer_dimIN3c104HalfEjSt10multipliesIS3_EEEvPT_PKS6_jjjS6_T1_.private_seg_size, 0
	.set _ZN2at6native28tensor_kernel_scan_outer_dimIN3c104HalfEjSt10multipliesIS3_EEEvPT_PKS6_jjjS6_T1_.uses_vcc, 1
	.set _ZN2at6native28tensor_kernel_scan_outer_dimIN3c104HalfEjSt10multipliesIS3_EEEvPT_PKS6_jjjS6_T1_.uses_flat_scratch, 0
	.set _ZN2at6native28tensor_kernel_scan_outer_dimIN3c104HalfEjSt10multipliesIS3_EEEvPT_PKS6_jjjS6_T1_.has_dyn_sized_stack, 0
	.set _ZN2at6native28tensor_kernel_scan_outer_dimIN3c104HalfEjSt10multipliesIS3_EEEvPT_PKS6_jjjS6_T1_.has_recursion, 0
	.set _ZN2at6native28tensor_kernel_scan_outer_dimIN3c104HalfEjSt10multipliesIS3_EEEvPT_PKS6_jjjS6_T1_.has_indirect_call, 0
	.section	.AMDGPU.csdata,"",@progbits
; Kernel info:
; codeLenInByte = 348
; TotalNumSgprs: 36
; NumVgprs: 10
; ScratchSize: 0
; MemoryBound: 0
; FloatMode: 240
; IeeeMode: 1
; LDSByteSize: 0 bytes/workgroup (compile time only)
; SGPRBlocks: 4
; VGPRBlocks: 2
; NumSGPRsForWavesPerEU: 36
; NumVGPRsForWavesPerEU: 10
; Occupancy: 10
; WaveLimiterHint : 0
; COMPUTE_PGM_RSRC2:SCRATCH_EN: 0
; COMPUTE_PGM_RSRC2:USER_SGPR: 6
; COMPUTE_PGM_RSRC2:TRAP_HANDLER: 0
; COMPUTE_PGM_RSRC2:TGID_X_EN: 1
; COMPUTE_PGM_RSRC2:TGID_Y_EN: 1
; COMPUTE_PGM_RSRC2:TGID_Z_EN: 0
; COMPUTE_PGM_RSRC2:TIDIG_COMP_CNT: 0
	.section	.text._ZN2at6native28tensor_kernel_scan_outer_dimIN3c104HalfEmSt10multipliesIS3_EEEvPT_PKS6_jjjS6_T1_,"axG",@progbits,_ZN2at6native28tensor_kernel_scan_outer_dimIN3c104HalfEmSt10multipliesIS3_EEEvPT_PKS6_jjjS6_T1_,comdat
	.protected	_ZN2at6native28tensor_kernel_scan_outer_dimIN3c104HalfEmSt10multipliesIS3_EEEvPT_PKS6_jjjS6_T1_ ; -- Begin function _ZN2at6native28tensor_kernel_scan_outer_dimIN3c104HalfEmSt10multipliesIS3_EEEvPT_PKS6_jjjS6_T1_
	.globl	_ZN2at6native28tensor_kernel_scan_outer_dimIN3c104HalfEmSt10multipliesIS3_EEEvPT_PKS6_jjjS6_T1_
	.p2align	8
	.type	_ZN2at6native28tensor_kernel_scan_outer_dimIN3c104HalfEmSt10multipliesIS3_EEEvPT_PKS6_jjjS6_T1_,@function
_ZN2at6native28tensor_kernel_scan_outer_dimIN3c104HalfEmSt10multipliesIS3_EEEvPT_PKS6_jjjS6_T1_: ; @_ZN2at6native28tensor_kernel_scan_outer_dimIN3c104HalfEmSt10multipliesIS3_EEEvPT_PKS6_jjjS6_T1_
; %bb.0:
	s_load_dwordx4 s[8:11], s[4:5], 0x10
	s_waitcnt lgkmcnt(0)
	s_cmp_ge_u32 s6, s8
	s_cbranch_scc1 .LBB89_9
; %bb.1:
	s_load_dword s0, s[4:5], 0x2c
	s_load_dwordx4 s[12:15], s[4:5], 0x0
	s_load_dword s26, s[4:5], 0x20
	s_add_u32 s16, s4, 32
	s_addc_u32 s17, s5, 0
	s_waitcnt lgkmcnt(0)
	s_and_b32 s27, s0, 0xffff
	s_cmp_lg_u32 s10, 0
	s_mul_i32 s7, s7, s27
	s_cselect_b64 s[4:5], -1, 0
	v_add_u32_e32 v2, s7, v0
	s_mov_b32 s3, 0
	s_mov_b32 s2, s9
	s_mul_hi_u32 s19, s10, s9
	s_mul_i32 s18, s10, s9
	v_cndmask_b32_e64 v0, 0, 1, s[4:5]
	v_cmp_gt_u32_e64 s[0:1], s9, v2
	s_lshl_b64 s[18:19], s[18:19], 1
	s_lshl_b64 s[20:21], s[2:3], 1
	v_cmp_ne_u32_e64 s[2:3], 1, v0
	v_mov_b32_e32 v1, 0
	s_branch .LBB89_3
.LBB89_2:                               ;   in Loop: Header=BB89_3 Depth=1
	s_or_b64 exec, exec, s[22:23]
	s_add_i32 s6, s6, s26
	s_cmp_ge_u32 s6, s8
	s_cbranch_scc1 .LBB89_9
.LBB89_3:                               ; =>This Loop Header: Depth=1
                                        ;     Child Loop BB89_6 Depth 2
                                        ;       Child Loop BB89_8 Depth 3
	s_and_saveexec_b64 s[22:23], s[0:1]
	s_cbranch_execz .LBB89_2
; %bb.4:                                ;   in Loop: Header=BB89_3 Depth=1
	s_load_dword s29, s[16:17], 0x4
	s_mul_i32 s4, s19, s6
	s_mul_hi_u32 s5, s18, s6
	s_mul_i32 s7, s18, s6
	s_add_i32 s28, s5, s4
	s_waitcnt lgkmcnt(0)
	s_mul_i32 s29, s29, s27
	s_mov_b64 s[24:25], 0
	v_mov_b32_e32 v0, v2
	s_branch .LBB89_6
.LBB89_5:                               ;   in Loop: Header=BB89_6 Depth=2
	v_add_u32_e32 v0, s29, v0
	v_cmp_le_u32_e32 vcc, s9, v0
	s_or_b64 s[24:25], vcc, s[24:25]
	s_andn2_b64 exec, exec, s[24:25]
	s_cbranch_execz .LBB89_2
.LBB89_6:                               ;   Parent Loop BB89_3 Depth=1
                                        ; =>  This Loop Header: Depth=2
                                        ;       Child Loop BB89_8 Depth 3
	s_and_b64 vcc, exec, s[2:3]
	s_cbranch_vccnz .LBB89_5
; %bb.7:                                ;   in Loop: Header=BB89_6 Depth=2
	v_lshlrev_b64 v[3:4], 1, v[0:1]
	v_mov_b32_e32 v5, s28
	v_add_co_u32_e32 v3, vcc, s7, v3
	v_addc_co_u32_e32 v4, vcc, v5, v4, vcc
	v_mov_b32_e32 v5, s11
	s_mov_b32 s30, s10
.LBB89_8:                               ;   Parent Loop BB89_3 Depth=1
                                        ;     Parent Loop BB89_6 Depth=2
                                        ; =>    This Inner Loop Header: Depth=3
	v_mov_b32_e32 v7, s15
	v_add_co_u32_e32 v6, vcc, s14, v3
	v_addc_co_u32_e32 v7, vcc, v7, v4, vcc
	global_load_ushort v8, v[6:7], off
	v_mov_b32_e32 v7, s13
	v_add_co_u32_e32 v6, vcc, s12, v3
	s_add_i32 s30, s30, -1
	v_mov_b32_e32 v9, s21
	v_add_co_u32_e64 v3, s[4:5], s20, v3
	v_addc_co_u32_e32 v7, vcc, v7, v4, vcc
	v_addc_co_u32_e64 v4, vcc, v4, v9, s[4:5]
	s_cmp_eq_u32 s30, 0
	s_waitcnt vmcnt(0)
	v_mul_f16_e32 v5, v5, v8
	global_store_short v[6:7], v5, off
	s_cbranch_scc0 .LBB89_8
	s_branch .LBB89_5
.LBB89_9:
	s_endpgm
	.section	.rodata,"a",@progbits
	.p2align	6, 0x0
	.amdhsa_kernel _ZN2at6native28tensor_kernel_scan_outer_dimIN3c104HalfEmSt10multipliesIS3_EEEvPT_PKS6_jjjS6_T1_
		.amdhsa_group_segment_fixed_size 0
		.amdhsa_private_segment_fixed_size 0
		.amdhsa_kernarg_size 288
		.amdhsa_user_sgpr_count 6
		.amdhsa_user_sgpr_private_segment_buffer 1
		.amdhsa_user_sgpr_dispatch_ptr 0
		.amdhsa_user_sgpr_queue_ptr 0
		.amdhsa_user_sgpr_kernarg_segment_ptr 1
		.amdhsa_user_sgpr_dispatch_id 0
		.amdhsa_user_sgpr_flat_scratch_init 0
		.amdhsa_user_sgpr_private_segment_size 0
		.amdhsa_uses_dynamic_stack 0
		.amdhsa_system_sgpr_private_segment_wavefront_offset 0
		.amdhsa_system_sgpr_workgroup_id_x 1
		.amdhsa_system_sgpr_workgroup_id_y 1
		.amdhsa_system_sgpr_workgroup_id_z 0
		.amdhsa_system_sgpr_workgroup_info 0
		.amdhsa_system_vgpr_workitem_id 0
		.amdhsa_next_free_vgpr 10
		.amdhsa_next_free_sgpr 31
		.amdhsa_reserve_vcc 1
		.amdhsa_reserve_flat_scratch 0
		.amdhsa_float_round_mode_32 0
		.amdhsa_float_round_mode_16_64 0
		.amdhsa_float_denorm_mode_32 3
		.amdhsa_float_denorm_mode_16_64 3
		.amdhsa_dx10_clamp 1
		.amdhsa_ieee_mode 1
		.amdhsa_fp16_overflow 0
		.amdhsa_exception_fp_ieee_invalid_op 0
		.amdhsa_exception_fp_denorm_src 0
		.amdhsa_exception_fp_ieee_div_zero 0
		.amdhsa_exception_fp_ieee_overflow 0
		.amdhsa_exception_fp_ieee_underflow 0
		.amdhsa_exception_fp_ieee_inexact 0
		.amdhsa_exception_int_div_zero 0
	.end_amdhsa_kernel
	.section	.text._ZN2at6native28tensor_kernel_scan_outer_dimIN3c104HalfEmSt10multipliesIS3_EEEvPT_PKS6_jjjS6_T1_,"axG",@progbits,_ZN2at6native28tensor_kernel_scan_outer_dimIN3c104HalfEmSt10multipliesIS3_EEEvPT_PKS6_jjjS6_T1_,comdat
.Lfunc_end89:
	.size	_ZN2at6native28tensor_kernel_scan_outer_dimIN3c104HalfEmSt10multipliesIS3_EEEvPT_PKS6_jjjS6_T1_, .Lfunc_end89-_ZN2at6native28tensor_kernel_scan_outer_dimIN3c104HalfEmSt10multipliesIS3_EEEvPT_PKS6_jjjS6_T1_
                                        ; -- End function
	.set _ZN2at6native28tensor_kernel_scan_outer_dimIN3c104HalfEmSt10multipliesIS3_EEEvPT_PKS6_jjjS6_T1_.num_vgpr, 10
	.set _ZN2at6native28tensor_kernel_scan_outer_dimIN3c104HalfEmSt10multipliesIS3_EEEvPT_PKS6_jjjS6_T1_.num_agpr, 0
	.set _ZN2at6native28tensor_kernel_scan_outer_dimIN3c104HalfEmSt10multipliesIS3_EEEvPT_PKS6_jjjS6_T1_.numbered_sgpr, 31
	.set _ZN2at6native28tensor_kernel_scan_outer_dimIN3c104HalfEmSt10multipliesIS3_EEEvPT_PKS6_jjjS6_T1_.num_named_barrier, 0
	.set _ZN2at6native28tensor_kernel_scan_outer_dimIN3c104HalfEmSt10multipliesIS3_EEEvPT_PKS6_jjjS6_T1_.private_seg_size, 0
	.set _ZN2at6native28tensor_kernel_scan_outer_dimIN3c104HalfEmSt10multipliesIS3_EEEvPT_PKS6_jjjS6_T1_.uses_vcc, 1
	.set _ZN2at6native28tensor_kernel_scan_outer_dimIN3c104HalfEmSt10multipliesIS3_EEEvPT_PKS6_jjjS6_T1_.uses_flat_scratch, 0
	.set _ZN2at6native28tensor_kernel_scan_outer_dimIN3c104HalfEmSt10multipliesIS3_EEEvPT_PKS6_jjjS6_T1_.has_dyn_sized_stack, 0
	.set _ZN2at6native28tensor_kernel_scan_outer_dimIN3c104HalfEmSt10multipliesIS3_EEEvPT_PKS6_jjjS6_T1_.has_recursion, 0
	.set _ZN2at6native28tensor_kernel_scan_outer_dimIN3c104HalfEmSt10multipliesIS3_EEEvPT_PKS6_jjjS6_T1_.has_indirect_call, 0
	.section	.AMDGPU.csdata,"",@progbits
; Kernel info:
; codeLenInByte = 348
; TotalNumSgprs: 35
; NumVgprs: 10
; ScratchSize: 0
; MemoryBound: 0
; FloatMode: 240
; IeeeMode: 1
; LDSByteSize: 0 bytes/workgroup (compile time only)
; SGPRBlocks: 4
; VGPRBlocks: 2
; NumSGPRsForWavesPerEU: 35
; NumVGPRsForWavesPerEU: 10
; Occupancy: 10
; WaveLimiterHint : 0
; COMPUTE_PGM_RSRC2:SCRATCH_EN: 0
; COMPUTE_PGM_RSRC2:USER_SGPR: 6
; COMPUTE_PGM_RSRC2:TRAP_HANDLER: 0
; COMPUTE_PGM_RSRC2:TGID_X_EN: 1
; COMPUTE_PGM_RSRC2:TGID_Y_EN: 1
; COMPUTE_PGM_RSRC2:TGID_Z_EN: 0
; COMPUTE_PGM_RSRC2:TIDIG_COMP_CNT: 0
	.section	.text._ZN7rocprim17ROCPRIM_304000_NS6detail31init_lookback_scan_state_kernelINS1_19lookback_scan_stateIN3c108BFloat16ELb1ELb1EEEEEvT_jjPNS7_10value_typeE,"axG",@progbits,_ZN7rocprim17ROCPRIM_304000_NS6detail31init_lookback_scan_state_kernelINS1_19lookback_scan_stateIN3c108BFloat16ELb1ELb1EEEEEvT_jjPNS7_10value_typeE,comdat
	.protected	_ZN7rocprim17ROCPRIM_304000_NS6detail31init_lookback_scan_state_kernelINS1_19lookback_scan_stateIN3c108BFloat16ELb1ELb1EEEEEvT_jjPNS7_10value_typeE ; -- Begin function _ZN7rocprim17ROCPRIM_304000_NS6detail31init_lookback_scan_state_kernelINS1_19lookback_scan_stateIN3c108BFloat16ELb1ELb1EEEEEvT_jjPNS7_10value_typeE
	.globl	_ZN7rocprim17ROCPRIM_304000_NS6detail31init_lookback_scan_state_kernelINS1_19lookback_scan_stateIN3c108BFloat16ELb1ELb1EEEEEvT_jjPNS7_10value_typeE
	.p2align	8
	.type	_ZN7rocprim17ROCPRIM_304000_NS6detail31init_lookback_scan_state_kernelINS1_19lookback_scan_stateIN3c108BFloat16ELb1ELb1EEEEEvT_jjPNS7_10value_typeE,@function
_ZN7rocprim17ROCPRIM_304000_NS6detail31init_lookback_scan_state_kernelINS1_19lookback_scan_stateIN3c108BFloat16ELb1ELb1EEEEEvT_jjPNS7_10value_typeE: ; @_ZN7rocprim17ROCPRIM_304000_NS6detail31init_lookback_scan_state_kernelINS1_19lookback_scan_stateIN3c108BFloat16ELb1ELb1EEEEEvT_jjPNS7_10value_typeE
; %bb.0:
	s_load_dword s7, s[4:5], 0x24
	s_load_dwordx2 s[8:9], s[4:5], 0x10
	s_load_dwordx4 s[0:3], s[4:5], 0x0
	s_waitcnt lgkmcnt(0)
	s_and_b32 s4, s7, 0xffff
	s_mul_i32 s6, s6, s4
	s_cmp_eq_u64 s[8:9], 0
	v_add_u32_e32 v0, s6, v0
	s_cbranch_scc1 .LBB90_9
; %bb.1:
	s_cmp_lt_u32 s3, s2
	s_cselect_b32 s4, s3, 0
	s_mov_b32 s7, 0
	v_cmp_eq_u32_e32 vcc, s4, v0
	s_and_saveexec_b64 s[4:5], vcc
	s_cbranch_execz .LBB90_8
; %bb.2:
	s_add_i32 s6, s3, 64
	s_lshl_b64 s[6:7], s[6:7], 2
	s_add_u32 s6, s0, s6
	s_addc_u32 s7, s1, s7
	v_mov_b32_e32 v1, 0
	global_load_dword v2, v1, s[6:7] glc
	s_waitcnt vmcnt(0)
	v_and_b32_e32 v3, 0xff0000, v2
	v_cmp_ne_u32_e32 vcc, 0, v3
	s_cbranch_vccnz .LBB90_7
; %bb.3:
	s_mov_b32 s3, 1
.LBB90_4:                               ; =>This Loop Header: Depth=1
                                        ;     Child Loop BB90_5 Depth 2
	s_mov_b32 s10, s3
.LBB90_5:                               ;   Parent Loop BB90_4 Depth=1
                                        ; =>  This Inner Loop Header: Depth=2
	s_add_i32 s10, s10, -1
	s_cmp_eq_u32 s10, 0
	s_sleep 1
	s_cbranch_scc0 .LBB90_5
; %bb.6:                                ;   in Loop: Header=BB90_4 Depth=1
	global_load_dword v2, v1, s[6:7] glc
	s_cmp_lt_u32 s3, 32
	s_cselect_b64 s[10:11], -1, 0
	s_cmp_lg_u64 s[10:11], 0
	s_addc_u32 s3, s3, 0
	s_waitcnt vmcnt(0)
	v_and_b32_e32 v3, 0xff0000, v2
	v_cmp_ne_u32_e32 vcc, 0, v3
	s_cbranch_vccz .LBB90_4
.LBB90_7:
	v_mov_b32_e32 v1, 0
	global_store_short v1, v2, s[8:9]
.LBB90_8:
	s_or_b64 exec, exec, s[4:5]
.LBB90_9:
	v_cmp_gt_u32_e32 vcc, s2, v0
	s_and_saveexec_b64 s[2:3], vcc
	s_cbranch_execnz .LBB90_12
; %bb.10:
	s_or_b64 exec, exec, s[2:3]
	v_cmp_gt_u32_e32 vcc, 64, v0
	s_and_saveexec_b64 s[2:3], vcc
	s_cbranch_execnz .LBB90_13
.LBB90_11:
	s_endpgm
.LBB90_12:
	v_add_u32_e32 v1, 64, v0
	v_mov_b32_e32 v2, 0
	v_lshlrev_b64 v[3:4], 2, v[1:2]
	v_mov_b32_e32 v1, s1
	v_add_co_u32_e32 v3, vcc, s0, v3
	v_addc_co_u32_e32 v4, vcc, v1, v4, vcc
	global_store_dword v[3:4], v2, off
	s_or_b64 exec, exec, s[2:3]
	v_cmp_gt_u32_e32 vcc, 64, v0
	s_and_saveexec_b64 s[2:3], vcc
	s_cbranch_execz .LBB90_11
.LBB90_13:
	v_mov_b32_e32 v1, 0
	v_lshlrev_b64 v[0:1], 2, v[0:1]
	v_mov_b32_e32 v2, s1
	v_add_co_u32_e32 v0, vcc, s0, v0
	v_addc_co_u32_e32 v1, vcc, v2, v1, vcc
	v_mov_b32_e32 v2, 0xff0000
	global_store_dword v[0:1], v2, off
	s_endpgm
	.section	.rodata,"a",@progbits
	.p2align	6, 0x0
	.amdhsa_kernel _ZN7rocprim17ROCPRIM_304000_NS6detail31init_lookback_scan_state_kernelINS1_19lookback_scan_stateIN3c108BFloat16ELb1ELb1EEEEEvT_jjPNS7_10value_typeE
		.amdhsa_group_segment_fixed_size 0
		.amdhsa_private_segment_fixed_size 0
		.amdhsa_kernarg_size 280
		.amdhsa_user_sgpr_count 6
		.amdhsa_user_sgpr_private_segment_buffer 1
		.amdhsa_user_sgpr_dispatch_ptr 0
		.amdhsa_user_sgpr_queue_ptr 0
		.amdhsa_user_sgpr_kernarg_segment_ptr 1
		.amdhsa_user_sgpr_dispatch_id 0
		.amdhsa_user_sgpr_flat_scratch_init 0
		.amdhsa_user_sgpr_private_segment_size 0
		.amdhsa_uses_dynamic_stack 0
		.amdhsa_system_sgpr_private_segment_wavefront_offset 0
		.amdhsa_system_sgpr_workgroup_id_x 1
		.amdhsa_system_sgpr_workgroup_id_y 0
		.amdhsa_system_sgpr_workgroup_id_z 0
		.amdhsa_system_sgpr_workgroup_info 0
		.amdhsa_system_vgpr_workitem_id 0
		.amdhsa_next_free_vgpr 5
		.amdhsa_next_free_sgpr 12
		.amdhsa_reserve_vcc 1
		.amdhsa_reserve_flat_scratch 0
		.amdhsa_float_round_mode_32 0
		.amdhsa_float_round_mode_16_64 0
		.amdhsa_float_denorm_mode_32 3
		.amdhsa_float_denorm_mode_16_64 3
		.amdhsa_dx10_clamp 1
		.amdhsa_ieee_mode 1
		.amdhsa_fp16_overflow 0
		.amdhsa_exception_fp_ieee_invalid_op 0
		.amdhsa_exception_fp_denorm_src 0
		.amdhsa_exception_fp_ieee_div_zero 0
		.amdhsa_exception_fp_ieee_overflow 0
		.amdhsa_exception_fp_ieee_underflow 0
		.amdhsa_exception_fp_ieee_inexact 0
		.amdhsa_exception_int_div_zero 0
	.end_amdhsa_kernel
	.section	.text._ZN7rocprim17ROCPRIM_304000_NS6detail31init_lookback_scan_state_kernelINS1_19lookback_scan_stateIN3c108BFloat16ELb1ELb1EEEEEvT_jjPNS7_10value_typeE,"axG",@progbits,_ZN7rocprim17ROCPRIM_304000_NS6detail31init_lookback_scan_state_kernelINS1_19lookback_scan_stateIN3c108BFloat16ELb1ELb1EEEEEvT_jjPNS7_10value_typeE,comdat
.Lfunc_end90:
	.size	_ZN7rocprim17ROCPRIM_304000_NS6detail31init_lookback_scan_state_kernelINS1_19lookback_scan_stateIN3c108BFloat16ELb1ELb1EEEEEvT_jjPNS7_10value_typeE, .Lfunc_end90-_ZN7rocprim17ROCPRIM_304000_NS6detail31init_lookback_scan_state_kernelINS1_19lookback_scan_stateIN3c108BFloat16ELb1ELb1EEEEEvT_jjPNS7_10value_typeE
                                        ; -- End function
	.set _ZN7rocprim17ROCPRIM_304000_NS6detail31init_lookback_scan_state_kernelINS1_19lookback_scan_stateIN3c108BFloat16ELb1ELb1EEEEEvT_jjPNS7_10value_typeE.num_vgpr, 5
	.set _ZN7rocprim17ROCPRIM_304000_NS6detail31init_lookback_scan_state_kernelINS1_19lookback_scan_stateIN3c108BFloat16ELb1ELb1EEEEEvT_jjPNS7_10value_typeE.num_agpr, 0
	.set _ZN7rocprim17ROCPRIM_304000_NS6detail31init_lookback_scan_state_kernelINS1_19lookback_scan_stateIN3c108BFloat16ELb1ELb1EEEEEvT_jjPNS7_10value_typeE.numbered_sgpr, 12
	.set _ZN7rocprim17ROCPRIM_304000_NS6detail31init_lookback_scan_state_kernelINS1_19lookback_scan_stateIN3c108BFloat16ELb1ELb1EEEEEvT_jjPNS7_10value_typeE.num_named_barrier, 0
	.set _ZN7rocprim17ROCPRIM_304000_NS6detail31init_lookback_scan_state_kernelINS1_19lookback_scan_stateIN3c108BFloat16ELb1ELb1EEEEEvT_jjPNS7_10value_typeE.private_seg_size, 0
	.set _ZN7rocprim17ROCPRIM_304000_NS6detail31init_lookback_scan_state_kernelINS1_19lookback_scan_stateIN3c108BFloat16ELb1ELb1EEEEEvT_jjPNS7_10value_typeE.uses_vcc, 1
	.set _ZN7rocprim17ROCPRIM_304000_NS6detail31init_lookback_scan_state_kernelINS1_19lookback_scan_stateIN3c108BFloat16ELb1ELb1EEEEEvT_jjPNS7_10value_typeE.uses_flat_scratch, 0
	.set _ZN7rocprim17ROCPRIM_304000_NS6detail31init_lookback_scan_state_kernelINS1_19lookback_scan_stateIN3c108BFloat16ELb1ELb1EEEEEvT_jjPNS7_10value_typeE.has_dyn_sized_stack, 0
	.set _ZN7rocprim17ROCPRIM_304000_NS6detail31init_lookback_scan_state_kernelINS1_19lookback_scan_stateIN3c108BFloat16ELb1ELb1EEEEEvT_jjPNS7_10value_typeE.has_recursion, 0
	.set _ZN7rocprim17ROCPRIM_304000_NS6detail31init_lookback_scan_state_kernelINS1_19lookback_scan_stateIN3c108BFloat16ELb1ELb1EEEEEvT_jjPNS7_10value_typeE.has_indirect_call, 0
	.section	.AMDGPU.csdata,"",@progbits
; Kernel info:
; codeLenInByte = 336
; TotalNumSgprs: 16
; NumVgprs: 5
; ScratchSize: 0
; MemoryBound: 0
; FloatMode: 240
; IeeeMode: 1
; LDSByteSize: 0 bytes/workgroup (compile time only)
; SGPRBlocks: 1
; VGPRBlocks: 1
; NumSGPRsForWavesPerEU: 16
; NumVGPRsForWavesPerEU: 5
; Occupancy: 10
; WaveLimiterHint : 0
; COMPUTE_PGM_RSRC2:SCRATCH_EN: 0
; COMPUTE_PGM_RSRC2:USER_SGPR: 6
; COMPUTE_PGM_RSRC2:TRAP_HANDLER: 0
; COMPUTE_PGM_RSRC2:TGID_X_EN: 1
; COMPUTE_PGM_RSRC2:TGID_Y_EN: 0
; COMPUTE_PGM_RSRC2:TGID_Z_EN: 0
; COMPUTE_PGM_RSRC2:TIDIG_COMP_CNT: 0
	.section	.text._ZN7rocprim17ROCPRIM_304000_NS6detail31init_lookback_scan_state_kernelINS1_19lookback_scan_stateIN3c108BFloat16ELb0ELb1EEEEEvT_jjPNS7_10value_typeE,"axG",@progbits,_ZN7rocprim17ROCPRIM_304000_NS6detail31init_lookback_scan_state_kernelINS1_19lookback_scan_stateIN3c108BFloat16ELb0ELb1EEEEEvT_jjPNS7_10value_typeE,comdat
	.protected	_ZN7rocprim17ROCPRIM_304000_NS6detail31init_lookback_scan_state_kernelINS1_19lookback_scan_stateIN3c108BFloat16ELb0ELb1EEEEEvT_jjPNS7_10value_typeE ; -- Begin function _ZN7rocprim17ROCPRIM_304000_NS6detail31init_lookback_scan_state_kernelINS1_19lookback_scan_stateIN3c108BFloat16ELb0ELb1EEEEEvT_jjPNS7_10value_typeE
	.globl	_ZN7rocprim17ROCPRIM_304000_NS6detail31init_lookback_scan_state_kernelINS1_19lookback_scan_stateIN3c108BFloat16ELb0ELb1EEEEEvT_jjPNS7_10value_typeE
	.p2align	8
	.type	_ZN7rocprim17ROCPRIM_304000_NS6detail31init_lookback_scan_state_kernelINS1_19lookback_scan_stateIN3c108BFloat16ELb0ELb1EEEEEvT_jjPNS7_10value_typeE,@function
_ZN7rocprim17ROCPRIM_304000_NS6detail31init_lookback_scan_state_kernelINS1_19lookback_scan_stateIN3c108BFloat16ELb0ELb1EEEEEvT_jjPNS7_10value_typeE: ; @_ZN7rocprim17ROCPRIM_304000_NS6detail31init_lookback_scan_state_kernelINS1_19lookback_scan_stateIN3c108BFloat16ELb0ELb1EEEEEvT_jjPNS7_10value_typeE
; %bb.0:
	s_load_dword s7, s[4:5], 0x24
	s_load_dwordx2 s[8:9], s[4:5], 0x10
	s_load_dwordx4 s[0:3], s[4:5], 0x0
	s_waitcnt lgkmcnt(0)
	s_and_b32 s4, s7, 0xffff
	s_mul_i32 s6, s6, s4
	s_cmp_eq_u64 s[8:9], 0
	v_add_u32_e32 v0, s6, v0
	s_cbranch_scc1 .LBB91_6
; %bb.1:
	s_cmp_lt_u32 s3, s2
	s_cselect_b32 s4, s3, 0
	s_mov_b32 s7, 0
	v_cmp_eq_u32_e32 vcc, s4, v0
	s_and_saveexec_b64 s[4:5], vcc
	s_cbranch_execz .LBB91_5
; %bb.2:
	s_add_i32 s6, s3, 64
	s_lshl_b64 s[6:7], s[6:7], 2
	s_add_u32 s6, s0, s6
	s_addc_u32 s7, s1, s7
	v_mov_b32_e32 v2, 0
	global_load_dword v1, v2, s[6:7] glc
	s_waitcnt vmcnt(0)
	v_and_b32_e32 v3, 0xff0000, v1
	v_cmp_ne_u32_e32 vcc, 0, v3
	s_cbranch_vccnz .LBB91_4
.LBB91_3:                               ; =>This Inner Loop Header: Depth=1
	global_load_dword v1, v2, s[6:7] glc
	s_waitcnt vmcnt(0)
	v_and_b32_e32 v3, 0xff0000, v1
	v_cmp_eq_u32_e32 vcc, 0, v3
	s_cbranch_vccnz .LBB91_3
.LBB91_4:
	v_mov_b32_e32 v2, 0
	global_store_short v2, v1, s[8:9]
.LBB91_5:
	s_or_b64 exec, exec, s[4:5]
.LBB91_6:
	v_cmp_gt_u32_e32 vcc, s2, v0
	s_and_saveexec_b64 s[2:3], vcc
	s_cbranch_execnz .LBB91_9
; %bb.7:
	s_or_b64 exec, exec, s[2:3]
	v_cmp_gt_u32_e32 vcc, 64, v0
	s_and_saveexec_b64 s[2:3], vcc
	s_cbranch_execnz .LBB91_10
.LBB91_8:
	s_endpgm
.LBB91_9:
	v_add_u32_e32 v1, 64, v0
	v_mov_b32_e32 v2, 0
	v_lshlrev_b64 v[3:4], 2, v[1:2]
	v_mov_b32_e32 v1, s1
	v_add_co_u32_e32 v3, vcc, s0, v3
	v_addc_co_u32_e32 v4, vcc, v1, v4, vcc
	global_store_dword v[3:4], v2, off
	s_or_b64 exec, exec, s[2:3]
	v_cmp_gt_u32_e32 vcc, 64, v0
	s_and_saveexec_b64 s[2:3], vcc
	s_cbranch_execz .LBB91_8
.LBB91_10:
	v_mov_b32_e32 v1, 0
	v_lshlrev_b64 v[0:1], 2, v[0:1]
	v_mov_b32_e32 v2, s1
	v_add_co_u32_e32 v0, vcc, s0, v0
	v_addc_co_u32_e32 v1, vcc, v2, v1, vcc
	v_mov_b32_e32 v2, 0xff0000
	global_store_dword v[0:1], v2, off
	s_endpgm
	.section	.rodata,"a",@progbits
	.p2align	6, 0x0
	.amdhsa_kernel _ZN7rocprim17ROCPRIM_304000_NS6detail31init_lookback_scan_state_kernelINS1_19lookback_scan_stateIN3c108BFloat16ELb0ELb1EEEEEvT_jjPNS7_10value_typeE
		.amdhsa_group_segment_fixed_size 0
		.amdhsa_private_segment_fixed_size 0
		.amdhsa_kernarg_size 280
		.amdhsa_user_sgpr_count 6
		.amdhsa_user_sgpr_private_segment_buffer 1
		.amdhsa_user_sgpr_dispatch_ptr 0
		.amdhsa_user_sgpr_queue_ptr 0
		.amdhsa_user_sgpr_kernarg_segment_ptr 1
		.amdhsa_user_sgpr_dispatch_id 0
		.amdhsa_user_sgpr_flat_scratch_init 0
		.amdhsa_user_sgpr_private_segment_size 0
		.amdhsa_uses_dynamic_stack 0
		.amdhsa_system_sgpr_private_segment_wavefront_offset 0
		.amdhsa_system_sgpr_workgroup_id_x 1
		.amdhsa_system_sgpr_workgroup_id_y 0
		.amdhsa_system_sgpr_workgroup_id_z 0
		.amdhsa_system_sgpr_workgroup_info 0
		.amdhsa_system_vgpr_workitem_id 0
		.amdhsa_next_free_vgpr 5
		.amdhsa_next_free_sgpr 10
		.amdhsa_reserve_vcc 1
		.amdhsa_reserve_flat_scratch 0
		.amdhsa_float_round_mode_32 0
		.amdhsa_float_round_mode_16_64 0
		.amdhsa_float_denorm_mode_32 3
		.amdhsa_float_denorm_mode_16_64 3
		.amdhsa_dx10_clamp 1
		.amdhsa_ieee_mode 1
		.amdhsa_fp16_overflow 0
		.amdhsa_exception_fp_ieee_invalid_op 0
		.amdhsa_exception_fp_denorm_src 0
		.amdhsa_exception_fp_ieee_div_zero 0
		.amdhsa_exception_fp_ieee_overflow 0
		.amdhsa_exception_fp_ieee_underflow 0
		.amdhsa_exception_fp_ieee_inexact 0
		.amdhsa_exception_int_div_zero 0
	.end_amdhsa_kernel
	.section	.text._ZN7rocprim17ROCPRIM_304000_NS6detail31init_lookback_scan_state_kernelINS1_19lookback_scan_stateIN3c108BFloat16ELb0ELb1EEEEEvT_jjPNS7_10value_typeE,"axG",@progbits,_ZN7rocprim17ROCPRIM_304000_NS6detail31init_lookback_scan_state_kernelINS1_19lookback_scan_stateIN3c108BFloat16ELb0ELb1EEEEEvT_jjPNS7_10value_typeE,comdat
.Lfunc_end91:
	.size	_ZN7rocprim17ROCPRIM_304000_NS6detail31init_lookback_scan_state_kernelINS1_19lookback_scan_stateIN3c108BFloat16ELb0ELb1EEEEEvT_jjPNS7_10value_typeE, .Lfunc_end91-_ZN7rocprim17ROCPRIM_304000_NS6detail31init_lookback_scan_state_kernelINS1_19lookback_scan_stateIN3c108BFloat16ELb0ELb1EEEEEvT_jjPNS7_10value_typeE
                                        ; -- End function
	.set _ZN7rocprim17ROCPRIM_304000_NS6detail31init_lookback_scan_state_kernelINS1_19lookback_scan_stateIN3c108BFloat16ELb0ELb1EEEEEvT_jjPNS7_10value_typeE.num_vgpr, 5
	.set _ZN7rocprim17ROCPRIM_304000_NS6detail31init_lookback_scan_state_kernelINS1_19lookback_scan_stateIN3c108BFloat16ELb0ELb1EEEEEvT_jjPNS7_10value_typeE.num_agpr, 0
	.set _ZN7rocprim17ROCPRIM_304000_NS6detail31init_lookback_scan_state_kernelINS1_19lookback_scan_stateIN3c108BFloat16ELb0ELb1EEEEEvT_jjPNS7_10value_typeE.numbered_sgpr, 10
	.set _ZN7rocprim17ROCPRIM_304000_NS6detail31init_lookback_scan_state_kernelINS1_19lookback_scan_stateIN3c108BFloat16ELb0ELb1EEEEEvT_jjPNS7_10value_typeE.num_named_barrier, 0
	.set _ZN7rocprim17ROCPRIM_304000_NS6detail31init_lookback_scan_state_kernelINS1_19lookback_scan_stateIN3c108BFloat16ELb0ELb1EEEEEvT_jjPNS7_10value_typeE.private_seg_size, 0
	.set _ZN7rocprim17ROCPRIM_304000_NS6detail31init_lookback_scan_state_kernelINS1_19lookback_scan_stateIN3c108BFloat16ELb0ELb1EEEEEvT_jjPNS7_10value_typeE.uses_vcc, 1
	.set _ZN7rocprim17ROCPRIM_304000_NS6detail31init_lookback_scan_state_kernelINS1_19lookback_scan_stateIN3c108BFloat16ELb0ELb1EEEEEvT_jjPNS7_10value_typeE.uses_flat_scratch, 0
	.set _ZN7rocprim17ROCPRIM_304000_NS6detail31init_lookback_scan_state_kernelINS1_19lookback_scan_stateIN3c108BFloat16ELb0ELb1EEEEEvT_jjPNS7_10value_typeE.has_dyn_sized_stack, 0
	.set _ZN7rocprim17ROCPRIM_304000_NS6detail31init_lookback_scan_state_kernelINS1_19lookback_scan_stateIN3c108BFloat16ELb0ELb1EEEEEvT_jjPNS7_10value_typeE.has_recursion, 0
	.set _ZN7rocprim17ROCPRIM_304000_NS6detail31init_lookback_scan_state_kernelINS1_19lookback_scan_stateIN3c108BFloat16ELb0ELb1EEEEEvT_jjPNS7_10value_typeE.has_indirect_call, 0
	.section	.AMDGPU.csdata,"",@progbits
; Kernel info:
; codeLenInByte = 296
; TotalNumSgprs: 14
; NumVgprs: 5
; ScratchSize: 0
; MemoryBound: 0
; FloatMode: 240
; IeeeMode: 1
; LDSByteSize: 0 bytes/workgroup (compile time only)
; SGPRBlocks: 1
; VGPRBlocks: 1
; NumSGPRsForWavesPerEU: 14
; NumVGPRsForWavesPerEU: 5
; Occupancy: 10
; WaveLimiterHint : 0
; COMPUTE_PGM_RSRC2:SCRATCH_EN: 0
; COMPUTE_PGM_RSRC2:USER_SGPR: 6
; COMPUTE_PGM_RSRC2:TRAP_HANDLER: 0
; COMPUTE_PGM_RSRC2:TGID_X_EN: 1
; COMPUTE_PGM_RSRC2:TGID_Y_EN: 0
; COMPUTE_PGM_RSRC2:TGID_Z_EN: 0
; COMPUTE_PGM_RSRC2:TIDIG_COMP_CNT: 0
	.section	.text._ZN7rocprim17ROCPRIM_304000_NS6detail20lookback_scan_kernelILNS1_25lookback_scan_determinismE0ELb0ENS1_19wrapped_scan_configINS0_14default_configEN3c108BFloat16EEEPKS7_PS7_St10multipliesIS7_ES7_S7_NS1_19lookback_scan_stateIS7_Lb1ELb1EEEEEvT2_T3_mT5_T4_T7_jPT6_SM_bb,"axG",@progbits,_ZN7rocprim17ROCPRIM_304000_NS6detail20lookback_scan_kernelILNS1_25lookback_scan_determinismE0ELb0ENS1_19wrapped_scan_configINS0_14default_configEN3c108BFloat16EEEPKS7_PS7_St10multipliesIS7_ES7_S7_NS1_19lookback_scan_stateIS7_Lb1ELb1EEEEEvT2_T3_mT5_T4_T7_jPT6_SM_bb,comdat
	.protected	_ZN7rocprim17ROCPRIM_304000_NS6detail20lookback_scan_kernelILNS1_25lookback_scan_determinismE0ELb0ENS1_19wrapped_scan_configINS0_14default_configEN3c108BFloat16EEEPKS7_PS7_St10multipliesIS7_ES7_S7_NS1_19lookback_scan_stateIS7_Lb1ELb1EEEEEvT2_T3_mT5_T4_T7_jPT6_SM_bb ; -- Begin function _ZN7rocprim17ROCPRIM_304000_NS6detail20lookback_scan_kernelILNS1_25lookback_scan_determinismE0ELb0ENS1_19wrapped_scan_configINS0_14default_configEN3c108BFloat16EEEPKS7_PS7_St10multipliesIS7_ES7_S7_NS1_19lookback_scan_stateIS7_Lb1ELb1EEEEEvT2_T3_mT5_T4_T7_jPT6_SM_bb
	.globl	_ZN7rocprim17ROCPRIM_304000_NS6detail20lookback_scan_kernelILNS1_25lookback_scan_determinismE0ELb0ENS1_19wrapped_scan_configINS0_14default_configEN3c108BFloat16EEEPKS7_PS7_St10multipliesIS7_ES7_S7_NS1_19lookback_scan_stateIS7_Lb1ELb1EEEEEvT2_T3_mT5_T4_T7_jPT6_SM_bb
	.p2align	8
	.type	_ZN7rocprim17ROCPRIM_304000_NS6detail20lookback_scan_kernelILNS1_25lookback_scan_determinismE0ELb0ENS1_19wrapped_scan_configINS0_14default_configEN3c108BFloat16EEEPKS7_PS7_St10multipliesIS7_ES7_S7_NS1_19lookback_scan_stateIS7_Lb1ELb1EEEEEvT2_T3_mT5_T4_T7_jPT6_SM_bb,@function
_ZN7rocprim17ROCPRIM_304000_NS6detail20lookback_scan_kernelILNS1_25lookback_scan_determinismE0ELb0ENS1_19wrapped_scan_configINS0_14default_configEN3c108BFloat16EEEPKS7_PS7_St10multipliesIS7_ES7_S7_NS1_19lookback_scan_stateIS7_Lb1ELb1EEEEEvT2_T3_mT5_T4_T7_jPT6_SM_bb: ; @_ZN7rocprim17ROCPRIM_304000_NS6detail20lookback_scan_kernelILNS1_25lookback_scan_determinismE0ELb0ENS1_19wrapped_scan_configINS0_14default_configEN3c108BFloat16EEEPKS7_PS7_St10multipliesIS7_ES7_S7_NS1_19lookback_scan_stateIS7_Lb1ELb1EEEEEvT2_T3_mT5_T4_T7_jPT6_SM_bb
; %bb.0:
	s_endpgm
	.section	.rodata,"a",@progbits
	.p2align	6, 0x0
	.amdhsa_kernel _ZN7rocprim17ROCPRIM_304000_NS6detail20lookback_scan_kernelILNS1_25lookback_scan_determinismE0ELb0ENS1_19wrapped_scan_configINS0_14default_configEN3c108BFloat16EEEPKS7_PS7_St10multipliesIS7_ES7_S7_NS1_19lookback_scan_stateIS7_Lb1ELb1EEEEEvT2_T3_mT5_T4_T7_jPT6_SM_bb
		.amdhsa_group_segment_fixed_size 0
		.amdhsa_private_segment_fixed_size 0
		.amdhsa_kernarg_size 68
		.amdhsa_user_sgpr_count 6
		.amdhsa_user_sgpr_private_segment_buffer 1
		.amdhsa_user_sgpr_dispatch_ptr 0
		.amdhsa_user_sgpr_queue_ptr 0
		.amdhsa_user_sgpr_kernarg_segment_ptr 1
		.amdhsa_user_sgpr_dispatch_id 0
		.amdhsa_user_sgpr_flat_scratch_init 0
		.amdhsa_user_sgpr_private_segment_size 0
		.amdhsa_uses_dynamic_stack 0
		.amdhsa_system_sgpr_private_segment_wavefront_offset 0
		.amdhsa_system_sgpr_workgroup_id_x 1
		.amdhsa_system_sgpr_workgroup_id_y 0
		.amdhsa_system_sgpr_workgroup_id_z 0
		.amdhsa_system_sgpr_workgroup_info 0
		.amdhsa_system_vgpr_workitem_id 0
		.amdhsa_next_free_vgpr 1
		.amdhsa_next_free_sgpr 0
		.amdhsa_reserve_vcc 0
		.amdhsa_reserve_flat_scratch 0
		.amdhsa_float_round_mode_32 0
		.amdhsa_float_round_mode_16_64 0
		.amdhsa_float_denorm_mode_32 3
		.amdhsa_float_denorm_mode_16_64 3
		.amdhsa_dx10_clamp 1
		.amdhsa_ieee_mode 1
		.amdhsa_fp16_overflow 0
		.amdhsa_exception_fp_ieee_invalid_op 0
		.amdhsa_exception_fp_denorm_src 0
		.amdhsa_exception_fp_ieee_div_zero 0
		.amdhsa_exception_fp_ieee_overflow 0
		.amdhsa_exception_fp_ieee_underflow 0
		.amdhsa_exception_fp_ieee_inexact 0
		.amdhsa_exception_int_div_zero 0
	.end_amdhsa_kernel
	.section	.text._ZN7rocprim17ROCPRIM_304000_NS6detail20lookback_scan_kernelILNS1_25lookback_scan_determinismE0ELb0ENS1_19wrapped_scan_configINS0_14default_configEN3c108BFloat16EEEPKS7_PS7_St10multipliesIS7_ES7_S7_NS1_19lookback_scan_stateIS7_Lb1ELb1EEEEEvT2_T3_mT5_T4_T7_jPT6_SM_bb,"axG",@progbits,_ZN7rocprim17ROCPRIM_304000_NS6detail20lookback_scan_kernelILNS1_25lookback_scan_determinismE0ELb0ENS1_19wrapped_scan_configINS0_14default_configEN3c108BFloat16EEEPKS7_PS7_St10multipliesIS7_ES7_S7_NS1_19lookback_scan_stateIS7_Lb1ELb1EEEEEvT2_T3_mT5_T4_T7_jPT6_SM_bb,comdat
.Lfunc_end92:
	.size	_ZN7rocprim17ROCPRIM_304000_NS6detail20lookback_scan_kernelILNS1_25lookback_scan_determinismE0ELb0ENS1_19wrapped_scan_configINS0_14default_configEN3c108BFloat16EEEPKS7_PS7_St10multipliesIS7_ES7_S7_NS1_19lookback_scan_stateIS7_Lb1ELb1EEEEEvT2_T3_mT5_T4_T7_jPT6_SM_bb, .Lfunc_end92-_ZN7rocprim17ROCPRIM_304000_NS6detail20lookback_scan_kernelILNS1_25lookback_scan_determinismE0ELb0ENS1_19wrapped_scan_configINS0_14default_configEN3c108BFloat16EEEPKS7_PS7_St10multipliesIS7_ES7_S7_NS1_19lookback_scan_stateIS7_Lb1ELb1EEEEEvT2_T3_mT5_T4_T7_jPT6_SM_bb
                                        ; -- End function
	.set _ZN7rocprim17ROCPRIM_304000_NS6detail20lookback_scan_kernelILNS1_25lookback_scan_determinismE0ELb0ENS1_19wrapped_scan_configINS0_14default_configEN3c108BFloat16EEEPKS7_PS7_St10multipliesIS7_ES7_S7_NS1_19lookback_scan_stateIS7_Lb1ELb1EEEEEvT2_T3_mT5_T4_T7_jPT6_SM_bb.num_vgpr, 0
	.set _ZN7rocprim17ROCPRIM_304000_NS6detail20lookback_scan_kernelILNS1_25lookback_scan_determinismE0ELb0ENS1_19wrapped_scan_configINS0_14default_configEN3c108BFloat16EEEPKS7_PS7_St10multipliesIS7_ES7_S7_NS1_19lookback_scan_stateIS7_Lb1ELb1EEEEEvT2_T3_mT5_T4_T7_jPT6_SM_bb.num_agpr, 0
	.set _ZN7rocprim17ROCPRIM_304000_NS6detail20lookback_scan_kernelILNS1_25lookback_scan_determinismE0ELb0ENS1_19wrapped_scan_configINS0_14default_configEN3c108BFloat16EEEPKS7_PS7_St10multipliesIS7_ES7_S7_NS1_19lookback_scan_stateIS7_Lb1ELb1EEEEEvT2_T3_mT5_T4_T7_jPT6_SM_bb.numbered_sgpr, 0
	.set _ZN7rocprim17ROCPRIM_304000_NS6detail20lookback_scan_kernelILNS1_25lookback_scan_determinismE0ELb0ENS1_19wrapped_scan_configINS0_14default_configEN3c108BFloat16EEEPKS7_PS7_St10multipliesIS7_ES7_S7_NS1_19lookback_scan_stateIS7_Lb1ELb1EEEEEvT2_T3_mT5_T4_T7_jPT6_SM_bb.num_named_barrier, 0
	.set _ZN7rocprim17ROCPRIM_304000_NS6detail20lookback_scan_kernelILNS1_25lookback_scan_determinismE0ELb0ENS1_19wrapped_scan_configINS0_14default_configEN3c108BFloat16EEEPKS7_PS7_St10multipliesIS7_ES7_S7_NS1_19lookback_scan_stateIS7_Lb1ELb1EEEEEvT2_T3_mT5_T4_T7_jPT6_SM_bb.private_seg_size, 0
	.set _ZN7rocprim17ROCPRIM_304000_NS6detail20lookback_scan_kernelILNS1_25lookback_scan_determinismE0ELb0ENS1_19wrapped_scan_configINS0_14default_configEN3c108BFloat16EEEPKS7_PS7_St10multipliesIS7_ES7_S7_NS1_19lookback_scan_stateIS7_Lb1ELb1EEEEEvT2_T3_mT5_T4_T7_jPT6_SM_bb.uses_vcc, 0
	.set _ZN7rocprim17ROCPRIM_304000_NS6detail20lookback_scan_kernelILNS1_25lookback_scan_determinismE0ELb0ENS1_19wrapped_scan_configINS0_14default_configEN3c108BFloat16EEEPKS7_PS7_St10multipliesIS7_ES7_S7_NS1_19lookback_scan_stateIS7_Lb1ELb1EEEEEvT2_T3_mT5_T4_T7_jPT6_SM_bb.uses_flat_scratch, 0
	.set _ZN7rocprim17ROCPRIM_304000_NS6detail20lookback_scan_kernelILNS1_25lookback_scan_determinismE0ELb0ENS1_19wrapped_scan_configINS0_14default_configEN3c108BFloat16EEEPKS7_PS7_St10multipliesIS7_ES7_S7_NS1_19lookback_scan_stateIS7_Lb1ELb1EEEEEvT2_T3_mT5_T4_T7_jPT6_SM_bb.has_dyn_sized_stack, 0
	.set _ZN7rocprim17ROCPRIM_304000_NS6detail20lookback_scan_kernelILNS1_25lookback_scan_determinismE0ELb0ENS1_19wrapped_scan_configINS0_14default_configEN3c108BFloat16EEEPKS7_PS7_St10multipliesIS7_ES7_S7_NS1_19lookback_scan_stateIS7_Lb1ELb1EEEEEvT2_T3_mT5_T4_T7_jPT6_SM_bb.has_recursion, 0
	.set _ZN7rocprim17ROCPRIM_304000_NS6detail20lookback_scan_kernelILNS1_25lookback_scan_determinismE0ELb0ENS1_19wrapped_scan_configINS0_14default_configEN3c108BFloat16EEEPKS7_PS7_St10multipliesIS7_ES7_S7_NS1_19lookback_scan_stateIS7_Lb1ELb1EEEEEvT2_T3_mT5_T4_T7_jPT6_SM_bb.has_indirect_call, 0
	.section	.AMDGPU.csdata,"",@progbits
; Kernel info:
; codeLenInByte = 4
; TotalNumSgprs: 4
; NumVgprs: 0
; ScratchSize: 0
; MemoryBound: 0
; FloatMode: 240
; IeeeMode: 1
; LDSByteSize: 0 bytes/workgroup (compile time only)
; SGPRBlocks: 0
; VGPRBlocks: 0
; NumSGPRsForWavesPerEU: 4
; NumVGPRsForWavesPerEU: 1
; Occupancy: 10
; WaveLimiterHint : 0
; COMPUTE_PGM_RSRC2:SCRATCH_EN: 0
; COMPUTE_PGM_RSRC2:USER_SGPR: 6
; COMPUTE_PGM_RSRC2:TRAP_HANDLER: 0
; COMPUTE_PGM_RSRC2:TGID_X_EN: 1
; COMPUTE_PGM_RSRC2:TGID_Y_EN: 0
; COMPUTE_PGM_RSRC2:TGID_Z_EN: 0
; COMPUTE_PGM_RSRC2:TIDIG_COMP_CNT: 0
	.section	.text._ZN7rocprim17ROCPRIM_304000_NS6detail20lookback_scan_kernelILNS1_25lookback_scan_determinismE0ELb0ENS1_19wrapped_scan_configINS0_14default_configEN3c108BFloat16EEEPKS7_PS7_St10multipliesIS7_ES7_S7_NS1_19lookback_scan_stateIS7_Lb0ELb1EEEEEvT2_T3_mT5_T4_T7_jPT6_SM_bb,"axG",@progbits,_ZN7rocprim17ROCPRIM_304000_NS6detail20lookback_scan_kernelILNS1_25lookback_scan_determinismE0ELb0ENS1_19wrapped_scan_configINS0_14default_configEN3c108BFloat16EEEPKS7_PS7_St10multipliesIS7_ES7_S7_NS1_19lookback_scan_stateIS7_Lb0ELb1EEEEEvT2_T3_mT5_T4_T7_jPT6_SM_bb,comdat
	.protected	_ZN7rocprim17ROCPRIM_304000_NS6detail20lookback_scan_kernelILNS1_25lookback_scan_determinismE0ELb0ENS1_19wrapped_scan_configINS0_14default_configEN3c108BFloat16EEEPKS7_PS7_St10multipliesIS7_ES7_S7_NS1_19lookback_scan_stateIS7_Lb0ELb1EEEEEvT2_T3_mT5_T4_T7_jPT6_SM_bb ; -- Begin function _ZN7rocprim17ROCPRIM_304000_NS6detail20lookback_scan_kernelILNS1_25lookback_scan_determinismE0ELb0ENS1_19wrapped_scan_configINS0_14default_configEN3c108BFloat16EEEPKS7_PS7_St10multipliesIS7_ES7_S7_NS1_19lookback_scan_stateIS7_Lb0ELb1EEEEEvT2_T3_mT5_T4_T7_jPT6_SM_bb
	.globl	_ZN7rocprim17ROCPRIM_304000_NS6detail20lookback_scan_kernelILNS1_25lookback_scan_determinismE0ELb0ENS1_19wrapped_scan_configINS0_14default_configEN3c108BFloat16EEEPKS7_PS7_St10multipliesIS7_ES7_S7_NS1_19lookback_scan_stateIS7_Lb0ELb1EEEEEvT2_T3_mT5_T4_T7_jPT6_SM_bb
	.p2align	8
	.type	_ZN7rocprim17ROCPRIM_304000_NS6detail20lookback_scan_kernelILNS1_25lookback_scan_determinismE0ELb0ENS1_19wrapped_scan_configINS0_14default_configEN3c108BFloat16EEEPKS7_PS7_St10multipliesIS7_ES7_S7_NS1_19lookback_scan_stateIS7_Lb0ELb1EEEEEvT2_T3_mT5_T4_T7_jPT6_SM_bb,@function
_ZN7rocprim17ROCPRIM_304000_NS6detail20lookback_scan_kernelILNS1_25lookback_scan_determinismE0ELb0ENS1_19wrapped_scan_configINS0_14default_configEN3c108BFloat16EEEPKS7_PS7_St10multipliesIS7_ES7_S7_NS1_19lookback_scan_stateIS7_Lb0ELb1EEEEEvT2_T3_mT5_T4_T7_jPT6_SM_bb: ; @_ZN7rocprim17ROCPRIM_304000_NS6detail20lookback_scan_kernelILNS1_25lookback_scan_determinismE0ELb0ENS1_19wrapped_scan_configINS0_14default_configEN3c108BFloat16EEEPKS7_PS7_St10multipliesIS7_ES7_S7_NS1_19lookback_scan_stateIS7_Lb0ELb1EEEEEvT2_T3_mT5_T4_T7_jPT6_SM_bb
; %bb.0:
	s_load_dword s3, s[4:5], 0x28
	s_load_dwordx4 s[8:11], s[4:5], 0x0
	s_load_dwordx2 s[0:1], s[4:5], 0x10
	s_mul_i32 s2, s6, 0x1800
	v_lshlrev_b32_e32 v19, 1, v0
	s_waitcnt lgkmcnt(0)
	s_add_i32 s7, s3, -1
	s_mul_i32 s12, s7, 0x1800
	s_sub_u32 s24, s0, s12
	s_subb_u32 s25, s1, 0
	s_mov_b32 s3, 0
	s_cmp_lg_u32 s6, s7
	s_cselect_b64 s[16:17], -1, 0
	s_lshl_b64 s[18:19], s[2:3], 1
	s_add_u32 s2, s8, s18
	s_addc_u32 s3, s9, s19
	s_mov_b64 s[0:1], -1
	s_and_b64 vcc, exec, s[16:17]
	s_cbranch_vccz .LBB93_2
; %bb.1:
	v_mov_b32_e32 v1, s3
	v_add_co_u32_e32 v3, vcc, s2, v19
	v_addc_co_u32_e32 v4, vcc, 0, v1, vcc
	v_add_co_u32_e32 v1, vcc, 0x1000, v3
	v_addc_co_u32_e32 v2, vcc, 0, v4, vcc
	global_load_ushort v5, v19, s[2:3]
	global_load_ushort v6, v19, s[2:3] offset:512
	global_load_ushort v7, v19, s[2:3] offset:1024
	global_load_ushort v8, v19, s[2:3] offset:1536
	global_load_ushort v9, v19, s[2:3] offset:2048
	global_load_ushort v10, v19, s[2:3] offset:2560
	global_load_ushort v11, v19, s[2:3] offset:3072
	global_load_ushort v12, v19, s[2:3] offset:3584
	global_load_ushort v13, v[1:2], off
	global_load_ushort v14, v[1:2], off offset:512
	global_load_ushort v15, v[1:2], off offset:1024
	;; [unrolled: 1-line block ×7, first 2 shown]
	v_add_co_u32_e32 v1, vcc, 0x2000, v3
	v_addc_co_u32_e32 v2, vcc, 0, v4, vcc
	global_load_ushort v3, v[1:2], off
	global_load_ushort v4, v[1:2], off offset:512
	global_load_ushort v22, v[1:2], off offset:1024
	global_load_ushort v23, v[1:2], off offset:1536
	global_load_ushort v24, v[1:2], off offset:2048
	global_load_ushort v25, v[1:2], off offset:2560
	global_load_ushort v26, v[1:2], off offset:3072
	global_load_ushort v27, v[1:2], off offset:3584
	s_mov_b64 s[0:1], 0
	s_waitcnt vmcnt(23)
	ds_write_b16 v19, v5
	s_waitcnt vmcnt(22)
	ds_write_b16 v19, v6 offset:512
	s_waitcnt vmcnt(21)
	ds_write_b16 v19, v7 offset:1024
	;; [unrolled: 2-line block ×23, first 2 shown]
	s_waitcnt lgkmcnt(0)
	s_barrier
.LBB93_2:
	s_andn2_b64 vcc, exec, s[0:1]
	v_cmp_gt_u32_e64 s[0:1], s24, v0
	s_cbranch_vccnz .LBB93_52
; %bb.3:
	v_mov_b32_e32 v1, 0
	global_load_ushort v3, v1, s[2:3]
	v_mov_b32_e32 v2, s3
	v_add_co_u32_e32 v1, vcc, s2, v19
	v_addc_co_u32_e32 v2, vcc, 0, v2, vcc
	s_waitcnt vmcnt(0)
	v_mov_b32_e32 v4, v3
	s_and_saveexec_b64 s[2:3], s[0:1]
	s_cbranch_execz .LBB93_5
; %bb.4:
	global_load_ushort v4, v[1:2], off
.LBB93_5:
	s_or_b64 exec, exec, s[2:3]
	v_or_b32_e32 v5, 0x100, v0
	v_cmp_gt_u32_e32 vcc, s24, v5
	v_mov_b32_e32 v5, v3
	s_and_saveexec_b64 s[0:1], vcc
	s_cbranch_execz .LBB93_7
; %bb.6:
	global_load_ushort v5, v[1:2], off offset:512
.LBB93_7:
	s_or_b64 exec, exec, s[0:1]
	v_or_b32_e32 v6, 0x200, v0
	v_cmp_gt_u32_e32 vcc, s24, v6
	v_mov_b32_e32 v6, v3
	s_and_saveexec_b64 s[0:1], vcc
	s_cbranch_execz .LBB93_9
; %bb.8:
	global_load_ushort v6, v[1:2], off offset:1024
.LBB93_9:
	;; [unrolled: 9-line block ×7, first 2 shown]
	s_or_b64 exec, exec, s[0:1]
	v_or_b32_e32 v12, 0x800, v0
	v_cmp_gt_u32_e32 vcc, s24, v12
	v_mov_b32_e32 v12, v3
	s_and_saveexec_b64 s[0:1], vcc
	s_cbranch_execz .LBB93_21
; %bb.20:
	v_add_co_u32_e32 v12, vcc, 0x1000, v1
	v_addc_co_u32_e32 v13, vcc, 0, v2, vcc
	global_load_ushort v12, v[12:13], off
.LBB93_21:
	s_or_b64 exec, exec, s[0:1]
	v_or_b32_e32 v13, 0x900, v0
	v_cmp_gt_u32_e32 vcc, s24, v13
	v_mov_b32_e32 v13, v3
	s_and_saveexec_b64 s[0:1], vcc
	s_cbranch_execz .LBB93_23
; %bb.22:
	v_add_co_u32_e32 v13, vcc, 0x1000, v1
	v_addc_co_u32_e32 v14, vcc, 0, v2, vcc
	global_load_ushort v13, v[13:14], off offset:512
.LBB93_23:
	s_or_b64 exec, exec, s[0:1]
	v_or_b32_e32 v14, 0xa00, v0
	v_cmp_gt_u32_e32 vcc, s24, v14
	v_mov_b32_e32 v14, v3
	s_and_saveexec_b64 s[0:1], vcc
	s_cbranch_execz .LBB93_25
; %bb.24:
	v_add_co_u32_e32 v14, vcc, 0x1000, v1
	v_addc_co_u32_e32 v15, vcc, 0, v2, vcc
	global_load_ushort v14, v[14:15], off offset:1024
.LBB93_25:
	;; [unrolled: 11-line block ×7, first 2 shown]
	s_or_b64 exec, exec, s[0:1]
	v_or_b32_e32 v21, 0x1000, v0
	v_cmp_gt_u32_e32 vcc, s24, v21
	v_mov_b32_e32 v21, v3
	s_and_saveexec_b64 s[0:1], vcc
	s_cbranch_execz .LBB93_37
; %bb.36:
	v_add_co_u32_e32 v21, vcc, 0x2000, v1
	v_addc_co_u32_e32 v22, vcc, 0, v2, vcc
	global_load_ushort v21, v[21:22], off
.LBB93_37:
	s_or_b64 exec, exec, s[0:1]
	v_or_b32_e32 v22, 0x1100, v0
	v_cmp_gt_u32_e32 vcc, s24, v22
	v_mov_b32_e32 v22, v3
	s_and_saveexec_b64 s[0:1], vcc
	s_cbranch_execz .LBB93_39
; %bb.38:
	v_add_co_u32_e32 v22, vcc, 0x2000, v1
	v_addc_co_u32_e32 v23, vcc, 0, v2, vcc
	global_load_ushort v22, v[22:23], off offset:512
.LBB93_39:
	s_or_b64 exec, exec, s[0:1]
	v_or_b32_e32 v23, 0x1200, v0
	v_cmp_gt_u32_e32 vcc, s24, v23
	v_mov_b32_e32 v23, v3
	s_and_saveexec_b64 s[0:1], vcc
	s_cbranch_execz .LBB93_41
; %bb.40:
	v_add_co_u32_e32 v23, vcc, 0x2000, v1
	v_addc_co_u32_e32 v24, vcc, 0, v2, vcc
	global_load_ushort v23, v[23:24], off offset:1024
.LBB93_41:
	;; [unrolled: 11-line block ×6, first 2 shown]
	s_or_b64 exec, exec, s[0:1]
	v_or_b32_e32 v28, 0x1700, v0
	v_cmp_gt_u32_e32 vcc, s24, v28
	s_and_saveexec_b64 s[0:1], vcc
	s_cbranch_execz .LBB93_51
; %bb.50:
	v_add_co_u32_e32 v1, vcc, 0x2000, v1
	v_addc_co_u32_e32 v2, vcc, 0, v2, vcc
	global_load_ushort v3, v[1:2], off offset:3584
.LBB93_51:
	s_or_b64 exec, exec, s[0:1]
	s_waitcnt vmcnt(0)
	ds_write_b16 v19, v4
	ds_write_b16 v19, v5 offset:512
	ds_write_b16 v19, v6 offset:1024
	;; [unrolled: 1-line block ×23, first 2 shown]
	s_waitcnt lgkmcnt(0)
	s_barrier
.LBB93_52:
	v_mul_u32_u24_e32 v20, 48, v0
	ds_read_b128 v[9:12], v20
	ds_read_b128 v[5:8], v20 offset:16
	ds_read_b128 v[1:4], v20 offset:32
	s_load_dwordx2 s[20:21], s[4:5], 0x20
	s_cmp_lg_u32 s6, 0
	v_lshrrev_b32_e32 v21, 4, v0
	v_cmp_gt_u32_e64 s[8:9], 64, v0
	s_waitcnt lgkmcnt(0)
	s_barrier
	s_cbranch_scc0 .LBB93_108
; %bb.53:
	v_mov_b32_e32 v13, 16
	v_lshlrev_b32_e32 v45, 16, v9
	v_lshlrev_b32_sdwa v22, v13, v9 dst_sel:DWORD dst_unused:UNUSED_PAD src0_sel:DWORD src1_sel:WORD_1
	v_mul_f32_e32 v14, v45, v22
	v_bfe_u32 v15, v14, 16, 1
	s_movk_i32 s2, 0x7fff
	v_add3_u32 v15, v14, v15, s2
	v_and_b32_e32 v15, 0xffff0000, v15
	v_mov_b32_e32 v16, 0x7fc00000
	v_cmp_o_f32_e32 vcc, v14, v14
	v_cndmask_b32_e32 v14, v16, v15, vcc
	v_lshlrev_b32_sdwa v23, v13, v10 dst_sel:DWORD dst_unused:UNUSED_PAD src0_sel:DWORD src1_sel:WORD_0
	v_mul_f32_e32 v14, v14, v23
	v_bfe_u32 v15, v14, 16, 1
	v_add3_u32 v15, v14, v15, s2
	v_and_b32_e32 v15, 0xffff0000, v15
	v_cmp_o_f32_e32 vcc, v14, v14
	v_cndmask_b32_e32 v14, v16, v15, vcc
	v_lshlrev_b32_sdwa v24, v13, v10 dst_sel:DWORD dst_unused:UNUSED_PAD src0_sel:DWORD src1_sel:WORD_1
	v_mul_f32_e32 v14, v14, v24
	v_bfe_u32 v15, v14, 16, 1
	v_add3_u32 v15, v14, v15, s2
	v_and_b32_e32 v15, 0xffff0000, v15
	v_cmp_o_f32_e32 vcc, v14, v14
	v_cndmask_b32_e32 v14, v16, v15, vcc
	v_lshlrev_b32_sdwa v25, v13, v11 dst_sel:DWORD dst_unused:UNUSED_PAD src0_sel:DWORD src1_sel:WORD_0
	v_mul_f32_e32 v14, v14, v25
	v_bfe_u32 v15, v14, 16, 1
	v_add3_u32 v15, v14, v15, s2
	v_and_b32_e32 v15, 0xffff0000, v15
	v_cmp_o_f32_e32 vcc, v14, v14
	v_cndmask_b32_e32 v14, v16, v15, vcc
	v_lshlrev_b32_sdwa v26, v13, v11 dst_sel:DWORD dst_unused:UNUSED_PAD src0_sel:DWORD src1_sel:WORD_1
	v_mul_f32_e32 v14, v14, v26
	v_bfe_u32 v15, v14, 16, 1
	v_add3_u32 v15, v14, v15, s2
	v_and_b32_e32 v15, 0xffff0000, v15
	;; [unrolled: 14-line block ×10, first 2 shown]
	v_cmp_o_f32_e32 vcc, v14, v14
	v_cndmask_b32_e32 v14, v16, v15, vcc
	v_lshlrev_b32_sdwa v43, v13, v4 dst_sel:DWORD dst_unused:UNUSED_PAD src0_sel:DWORD src1_sel:WORD_0
	v_mul_f32_e32 v14, v14, v43
	v_bfe_u32 v15, v14, 16, 1
	v_add3_u32 v15, v14, v15, s2
	v_and_b32_e32 v15, 0xffff0000, v15
	v_cmp_o_f32_e32 vcc, v14, v14
	v_cndmask_b32_e32 v14, v16, v15, vcc
	v_lshlrev_b32_sdwa v44, v13, v4 dst_sel:DWORD dst_unused:UNUSED_PAD src0_sel:DWORD src1_sel:WORD_1
	v_mul_f32_e32 v13, v14, v44
	v_bfe_u32 v14, v13, 16, 1
	v_add3_u32 v14, v13, v14, s2
	v_lshrrev_b32_e32 v14, 16, v14
	v_mov_b32_e32 v18, 0x7fc0
	v_cmp_o_f32_e32 vcc, v13, v13
	v_and_b32_e32 v13, 14, v21
	v_cndmask_b32_e32 v46, v18, v14, vcc
	v_lshl_add_u32 v13, v0, 1, v13
	ds_write_b16 v13, v46
	s_waitcnt lgkmcnt(0)
	s_barrier
	s_and_saveexec_b64 s[0:1], s[8:9]
	s_cbranch_execz .LBB93_67
; %bb.54:
	v_lshrrev_b32_e32 v13, 2, v0
	v_and_b32_e32 v13, 62, v13
	v_lshlrev_b32_e32 v14, 3, v0
	v_add_u32_e32 v13, v13, v14
	ds_read_b64 v[47:48], v13
	s_waitcnt lgkmcnt(0)
	v_and_b32_e32 v14, 0xffff0000, v47
	v_lshlrev_b32_e32 v17, 16, v47
	v_mul_f32_e32 v47, v17, v14
	v_bfe_u32 v49, v47, 16, 1
	v_add3_u32 v49, v47, v49, s2
	v_and_b32_e32 v49, 0xffff0000, v49
	v_cmp_o_f32_e32 vcc, v47, v47
	v_lshlrev_b32_e32 v15, 16, v48
	v_cndmask_b32_e32 v47, v16, v49, vcc
	v_mul_f32_e32 v47, v47, v15
	v_bfe_u32 v49, v47, 16, 1
	v_add3_u32 v49, v47, v49, s2
	v_and_b32_e32 v49, 0xffff0000, v49
	v_cmp_o_f32_e32 vcc, v47, v47
	v_cndmask_b32_e32 v47, v16, v49, vcc
	v_and_b32_e32 v16, 0xffff0000, v48
	v_mul_f32_e32 v47, v47, v16
	v_bfe_u32 v48, v47, 16, 1
	v_add3_u32 v48, v47, v48, s2
	v_lshrrev_b32_e32 v48, 16, v48
	v_cmp_o_f32_e32 vcc, v47, v47
	v_cndmask_b32_e32 v47, v18, v48, vcc
	v_mbcnt_lo_u32_b32 v18, -1, 0
	v_mbcnt_hi_u32_b32 v18, -1, v18
	v_and_b32_e32 v49, 15, v18
	v_and_b32_e32 v48, 0xffff, v47
	v_cmp_ne_u32_e32 vcc, 0, v49
	s_nop 0
	v_mov_b32_dpp v50, v48 row_shr:1 row_mask:0xf bank_mask:0xf
	s_and_saveexec_b64 s[2:3], vcc
	s_cbranch_execz .LBB93_56
; %bb.55:
	v_lshlrev_b32_e32 v47, 16, v50
	v_lshlrev_b32_e32 v48, 16, v48
	v_mul_f32_e32 v47, v47, v48
	v_bfe_u32 v48, v47, 16, 1
	s_movk_i32 s7, 0x7fff
	v_add3_u32 v48, v47, v48, s7
	v_cmp_o_f32_e32 vcc, v47, v47
	v_mov_b32_e32 v47, 0x7fc0
	v_cndmask_b32_sdwa v47, v47, v48, vcc dst_sel:DWORD dst_unused:UNUSED_PAD src0_sel:DWORD src1_sel:WORD_1
	v_and_b32_e32 v48, 0xffff, v47
.LBB93_56:
	s_or_b64 exec, exec, s[2:3]
	s_nop 0
	v_mov_b32_dpp v50, v48 row_shr:2 row_mask:0xf bank_mask:0xf
	v_cmp_lt_u32_e32 vcc, 1, v49
	s_and_saveexec_b64 s[2:3], vcc
	s_cbranch_execz .LBB93_58
; %bb.57:
	v_lshlrev_b32_e32 v47, 16, v50
	v_lshlrev_b32_e32 v48, 16, v48
	v_mul_f32_e32 v47, v48, v47
	v_bfe_u32 v48, v47, 16, 1
	s_movk_i32 s7, 0x7fff
	v_add3_u32 v48, v47, v48, s7
	v_cmp_o_f32_e32 vcc, v47, v47
	v_mov_b32_e32 v47, 0x7fc0
	v_cndmask_b32_sdwa v47, v47, v48, vcc dst_sel:DWORD dst_unused:UNUSED_PAD src0_sel:DWORD src1_sel:WORD_1
	v_and_b32_e32 v48, 0xffff, v47
.LBB93_58:
	s_or_b64 exec, exec, s[2:3]
	s_nop 0
	v_mov_b32_dpp v50, v48 row_shr:4 row_mask:0xf bank_mask:0xf
	v_cmp_lt_u32_e32 vcc, 3, v49
	;; [unrolled: 18-line block ×3, first 2 shown]
	s_and_saveexec_b64 s[2:3], vcc
	s_cbranch_execz .LBB93_62
; %bb.61:
	v_lshlrev_b32_e32 v47, 16, v50
	v_lshlrev_b32_e32 v48, 16, v48
	v_mul_f32_e32 v47, v48, v47
	v_bfe_u32 v48, v47, 16, 1
	s_movk_i32 s7, 0x7fff
	v_add3_u32 v48, v47, v48, s7
	v_cmp_o_f32_e32 vcc, v47, v47
	v_mov_b32_e32 v47, 0x7fc0
	v_cndmask_b32_sdwa v47, v47, v48, vcc dst_sel:DWORD dst_unused:UNUSED_PAD src0_sel:DWORD src1_sel:WORD_1
	v_and_b32_e32 v48, 0xffff, v47
.LBB93_62:
	s_or_b64 exec, exec, s[2:3]
	v_and_b32_e32 v50, 16, v18
	v_mov_b32_dpp v49, v48 row_bcast:15 row_mask:0xf bank_mask:0xf
	v_cmp_ne_u32_e32 vcc, 0, v50
	s_and_saveexec_b64 s[2:3], vcc
	s_cbranch_execz .LBB93_64
; %bb.63:
	v_lshlrev_b32_e32 v47, 16, v49
	v_lshlrev_b32_e32 v48, 16, v48
	v_mul_f32_e32 v47, v48, v47
	v_bfe_u32 v48, v47, 16, 1
	s_movk_i32 s7, 0x7fff
	v_add3_u32 v48, v47, v48, s7
	v_cmp_o_f32_e32 vcc, v47, v47
	v_mov_b32_e32 v47, 0x7fc0
	v_cndmask_b32_sdwa v47, v47, v48, vcc dst_sel:DWORD dst_unused:UNUSED_PAD src0_sel:DWORD src1_sel:WORD_1
	v_and_b32_e32 v48, 0xffff, v47
.LBB93_64:
	s_or_b64 exec, exec, s[2:3]
	s_nop 0
	v_mov_b32_dpp v49, v48 row_bcast:31 row_mask:0xf bank_mask:0xf
	v_cmp_lt_u32_e32 vcc, 31, v18
	s_and_saveexec_b64 s[2:3], vcc
; %bb.65:
	v_lshlrev_b32_e32 v47, 16, v49
	v_lshlrev_b32_e32 v48, 16, v48
	v_mul_f32_e32 v47, v48, v47
	v_bfe_u32 v48, v47, 16, 1
	s_movk_i32 s7, 0x7fff
	v_add3_u32 v48, v47, v48, s7
	v_cmp_o_f32_e32 vcc, v47, v47
	v_mov_b32_e32 v47, 0x7fc0
	v_cndmask_b32_sdwa v47, v47, v48, vcc dst_sel:DWORD dst_unused:UNUSED_PAD src0_sel:DWORD src1_sel:WORD_1
; %bb.66:
	s_or_b64 exec, exec, s[2:3]
	v_add_u32_e32 v48, -1, v18
	v_and_b32_e32 v49, 64, v18
	v_cmp_lt_i32_e32 vcc, v48, v49
	v_cndmask_b32_e32 v18, v48, v18, vcc
	v_lshlrev_b32_e32 v18, 2, v18
	v_and_b32_e32 v47, 0xffff, v47
	ds_bpermute_b32 v18, v18, v47
	s_movk_i32 s2, 0x7fff
	s_waitcnt lgkmcnt(0)
	v_lshlrev_b32_e32 v18, 16, v18
	v_mul_f32_e32 v17, v17, v18
	v_bfe_u32 v18, v17, 16, 1
	v_add3_u32 v18, v17, v18, s2
	v_cmp_o_f32_e32 vcc, v17, v17
	v_mov_b32_e32 v17, 0x7fc0
	v_cndmask_b32_sdwa v18, v17, v18, vcc dst_sel:DWORD dst_unused:UNUSED_PAD src0_sel:DWORD src1_sel:WORD_1
	v_cmp_eq_u32_e32 vcc, 0, v0
	v_cndmask_b32_e32 v18, v18, v46, vcc
	v_lshlrev_b32_e32 v47, 16, v18
	v_mul_f32_e32 v14, v14, v47
	v_bfe_u32 v47, v14, 16, 1
	v_add3_u32 v47, v14, v47, s2
	v_cmp_o_f32_e32 vcc, v14, v14
	v_cndmask_b32_sdwa v14, v17, v47, vcc dst_sel:DWORD dst_unused:UNUSED_PAD src0_sel:DWORD src1_sel:WORD_1
	v_lshlrev_b32_e32 v47, 16, v14
	v_mul_f32_e32 v15, v15, v47
	v_bfe_u32 v47, v15, 16, 1
	v_add3_u32 v47, v15, v47, s2
	v_cmp_o_f32_e32 vcc, v15, v15
	v_cndmask_b32_sdwa v15, v17, v47, vcc dst_sel:DWORD dst_unused:UNUSED_PAD src0_sel:DWORD src1_sel:WORD_1
	;; [unrolled: 6-line block ×3, first 2 shown]
	s_mov_b32 s2, 0x5040100
	v_perm_b32 v15, v16, v15, s2
	v_perm_b32 v14, v14, v18, s2
	ds_write_b64 v13, v[14:15]
.LBB93_67:
	s_or_b64 exec, exec, s[0:1]
	v_cmp_eq_u32_e64 s[2:3], 0, v0
	v_cmp_ne_u32_e64 s[0:1], 0, v0
	s_waitcnt lgkmcnt(0)
	s_barrier
	s_and_saveexec_b64 s[12:13], s[0:1]
; %bb.68:
	v_add_u32_e32 v13, -1, v0
	v_lshrrev_b32_e32 v14, 4, v13
	v_and_b32_e32 v14, 0xffffffe, v14
	v_lshl_add_u32 v13, v13, 1, v14
	ds_read_u16 v46, v13
; %bb.69:
	s_or_b64 exec, exec, s[12:13]
	s_and_saveexec_b64 s[12:13], s[8:9]
	s_cbranch_execz .LBB93_113
; %bb.70:
	v_mov_b32_e32 v15, 0
	ds_read_u16 v47, v15 offset:524
	v_mbcnt_lo_u32_b32 v13, -1, 0
	v_mbcnt_hi_u32_b32 v18, -1, v13
	s_mov_b32 s23, 0
	v_cmp_eq_u32_e64 s[8:9], 0, v18
	s_and_saveexec_b64 s[14:15], s[8:9]
	s_cbranch_execz .LBB93_72
; %bb.71:
	s_add_i32 s22, s6, 64
	s_lshl_b64 s[22:23], s[22:23], 2
	s_add_u32 s22, s20, s22
	s_waitcnt lgkmcnt(0)
	v_or_b32_e32 v13, 0x10000, v47
	s_addc_u32 s23, s21, s23
	global_store_dword v15, v13, s[22:23]
.LBB93_72:
	s_or_b64 exec, exec, s[14:15]
	v_xad_u32 v13, v18, -1, s6
	v_add_u32_e32 v14, 64, v13
	v_lshlrev_b64 v[16:17], 2, v[14:15]
	v_mov_b32_e32 v14, s21
	v_add_co_u32_e32 v16, vcc, s20, v16
	v_addc_co_u32_e32 v17, vcc, v14, v17, vcc
	global_load_dword v64, v[16:17], off glc
	s_waitcnt vmcnt(0)
	v_lshrrev_b32_e32 v48, 16, v64
	v_cmp_eq_u16_sdwa s[22:23], v48, v15 src0_sel:BYTE_0 src1_sel:DWORD
	s_and_saveexec_b64 s[14:15], s[22:23]
	s_cbranch_execz .LBB93_76
; %bb.73:
	s_mov_b64 s[22:23], 0
	v_mov_b32_e32 v14, 0
.LBB93_74:                              ; =>This Inner Loop Header: Depth=1
	global_load_dword v64, v[16:17], off glc
	s_waitcnt vmcnt(0)
	v_lshrrev_b32_e32 v48, 16, v64
	v_cmp_ne_u16_sdwa s[26:27], v48, v14 src0_sel:BYTE_0 src1_sel:DWORD
	s_or_b64 s[22:23], s[26:27], s[22:23]
	s_andn2_b64 exec, exec, s[22:23]
	s_cbranch_execnz .LBB93_74
; %bb.75:
	s_or_b64 exec, exec, s[22:23]
.LBB93_76:
	s_or_b64 exec, exec, s[14:15]
	v_and_b32_e32 v17, 63, v18
	v_mov_b32_e32 v14, 2
	v_lshlrev_b64 v[15:16], v18, -1
	v_cmp_ne_u32_e32 vcc, 63, v17
	v_cmp_eq_u16_sdwa s[14:15], v48, v14 src0_sel:BYTE_0 src1_sel:DWORD
	v_addc_co_u32_e32 v49, vcc, 0, v18, vcc
	v_and_b32_e32 v14, s15, v16
	v_lshlrev_b32_e32 v49, 2, v49
	v_and_b32_e32 v59, 0xffff, v64
	v_or_b32_e32 v14, 0x80000000, v14
	ds_bpermute_b32 v51, v49, v59
	v_and_b32_e32 v50, s14, v15
	v_ffbl_b32_e32 v14, v14
	v_add_u32_e32 v14, 32, v14
	v_ffbl_b32_e32 v50, v50
	v_min_u32_e32 v14, v50, v14
	v_add_u32_e32 v50, 1, v18
	v_cmp_le_u32_e32 vcc, v50, v14
	s_and_saveexec_b64 s[14:15], vcc
	s_cbranch_execz .LBB93_78
; %bb.77:
	s_waitcnt lgkmcnt(0)
	v_lshlrev_b32_e32 v51, 16, v51
	v_lshlrev_b32_e32 v52, 16, v59
	v_mul_f32_e32 v51, v52, v51
	v_bfe_u32 v52, v51, 16, 1
	s_movk_i32 s7, 0x7fff
	v_add3_u32 v52, v51, v52, s7
	v_cmp_o_f32_e32 vcc, v51, v51
	v_mov_b32_e32 v51, 0x7fc0
	v_cndmask_b32_sdwa v64, v51, v52, vcc dst_sel:DWORD dst_unused:UNUSED_PAD src0_sel:DWORD src1_sel:WORD_1
	v_and_b32_e32 v59, 0xffff, v64
.LBB93_78:
	s_or_b64 exec, exec, s[14:15]
	v_cmp_gt_u32_e32 vcc, 62, v17
	s_waitcnt lgkmcnt(0)
	v_cndmask_b32_e64 v51, 0, 2, vcc
	v_add_lshl_u32 v51, v51, v18, 2
	ds_bpermute_b32 v53, v51, v59
	v_add_u32_e32 v52, 2, v18
	v_cmp_le_u32_e32 vcc, v52, v14
	s_and_saveexec_b64 s[14:15], vcc
	s_cbranch_execz .LBB93_80
; %bb.79:
	s_waitcnt lgkmcnt(0)
	v_lshlrev_b32_e32 v53, 16, v53
	v_lshlrev_b32_e32 v54, 16, v59
	v_mul_f32_e32 v53, v54, v53
	v_bfe_u32 v54, v53, 16, 1
	s_movk_i32 s7, 0x7fff
	v_add3_u32 v54, v53, v54, s7
	v_cmp_o_f32_e32 vcc, v53, v53
	v_mov_b32_e32 v53, 0x7fc0
	v_cndmask_b32_sdwa v64, v53, v54, vcc dst_sel:DWORD dst_unused:UNUSED_PAD src0_sel:DWORD src1_sel:WORD_1
	v_and_b32_e32 v59, 0xffff, v64
.LBB93_80:
	s_or_b64 exec, exec, s[14:15]
	v_cmp_gt_u32_e32 vcc, 60, v17
	s_waitcnt lgkmcnt(0)
	v_cndmask_b32_e64 v53, 0, 4, vcc
	v_add_lshl_u32 v53, v53, v18, 2
	ds_bpermute_b32 v55, v53, v59
	;; [unrolled: 23-line block ×3, first 2 shown]
	v_add_u32_e32 v56, 8, v18
	v_cmp_le_u32_e32 vcc, v56, v14
	s_and_saveexec_b64 s[14:15], vcc
	s_cbranch_execz .LBB93_84
; %bb.83:
	s_waitcnt lgkmcnt(0)
	v_lshlrev_b32_e32 v57, 16, v57
	v_lshlrev_b32_e32 v58, 16, v59
	v_mul_f32_e32 v57, v58, v57
	v_bfe_u32 v58, v57, 16, 1
	s_movk_i32 s7, 0x7fff
	v_add3_u32 v58, v57, v58, s7
	v_cmp_o_f32_e32 vcc, v57, v57
	v_mov_b32_e32 v57, 0x7fc0
	v_cndmask_b32_sdwa v64, v57, v58, vcc dst_sel:DWORD dst_unused:UNUSED_PAD src0_sel:DWORD src1_sel:WORD_1
	v_and_b32_e32 v59, 0xffff, v64
.LBB93_84:
	s_or_b64 exec, exec, s[14:15]
	v_cmp_gt_u32_e32 vcc, 48, v17
	v_cndmask_b32_e64 v17, 0, 16, vcc
	s_waitcnt lgkmcnt(0)
	v_add_lshl_u32 v57, v17, v18, 2
	ds_bpermute_b32 v17, v57, v59
	v_add_u32_e32 v58, 16, v18
	v_cmp_le_u32_e32 vcc, v58, v14
	s_and_saveexec_b64 s[14:15], vcc
	s_cbranch_execz .LBB93_86
; %bb.85:
	s_waitcnt lgkmcnt(0)
	v_lshlrev_b32_e32 v17, 16, v17
	v_lshlrev_b32_e32 v59, 16, v59
	v_mul_f32_e32 v17, v59, v17
	v_bfe_u32 v59, v17, 16, 1
	s_movk_i32 s7, 0x7fff
	v_add3_u32 v59, v17, v59, s7
	v_cmp_o_f32_e32 vcc, v17, v17
	v_mov_b32_e32 v17, 0x7fc0
	v_cndmask_b32_sdwa v64, v17, v59, vcc dst_sel:DWORD dst_unused:UNUSED_PAD src0_sel:DWORD src1_sel:WORD_1
	v_and_b32_e32 v59, 0xffff, v64
.LBB93_86:
	s_or_b64 exec, exec, s[14:15]
	s_waitcnt lgkmcnt(0)
	v_mov_b32_e32 v17, 0x80
	v_lshl_or_b32 v60, v18, 2, v17
	ds_bpermute_b32 v17, v60, v59
	v_add_u32_e32 v61, 32, v18
	v_cmp_le_u32_e32 vcc, v61, v14
	s_and_saveexec_b64 s[14:15], vcc
	s_cbranch_execz .LBB93_88
; %bb.87:
	s_waitcnt lgkmcnt(0)
	v_lshlrev_b32_e32 v14, 16, v17
	v_lshlrev_b32_e32 v17, 16, v59
	v_mul_f32_e32 v14, v17, v14
	v_bfe_u32 v17, v14, 16, 1
	s_movk_i32 s7, 0x7fff
	v_add3_u32 v17, v14, v17, s7
	v_cmp_o_f32_e32 vcc, v14, v14
	v_mov_b32_e32 v14, 0x7fc0
	v_cndmask_b32_sdwa v64, v14, v17, vcc dst_sel:DWORD dst_unused:UNUSED_PAD src0_sel:DWORD src1_sel:WORD_1
.LBB93_88:
	s_or_b64 exec, exec, s[14:15]
	v_mov_b32_e32 v14, 0
	s_movk_i32 s7, 0x7fff
	v_mov_b32_e32 v62, 2
	v_mov_b32_e32 v63, 0x7fc0
	s_branch .LBB93_91
.LBB93_89:                              ;   in Loop: Header=BB93_91 Depth=1
	s_or_b64 exec, exec, s[14:15]
	v_lshlrev_b32_e32 v17, 16, v64
	v_lshlrev_b32_e32 v18, 16, v59
	v_mul_f32_e32 v17, v18, v17
	v_bfe_u32 v18, v17, 16, 1
	v_add3_u32 v18, v17, v18, s7
	v_cmp_o_f32_e32 vcc, v17, v17
	v_subrev_u32_e32 v13, 64, v13
	v_cndmask_b32_sdwa v64, v63, v18, vcc dst_sel:DWORD dst_unused:UNUSED_PAD src0_sel:DWORD src1_sel:WORD_1
	s_mov_b64 s[14:15], 0
.LBB93_90:                              ;   in Loop: Header=BB93_91 Depth=1
	s_and_b64 vcc, exec, s[14:15]
	s_cbranch_vccnz .LBB93_109
.LBB93_91:                              ; =>This Loop Header: Depth=1
                                        ;     Child Loop BB93_94 Depth 2
	v_cmp_ne_u16_sdwa s[14:15], v48, v62 src0_sel:BYTE_0 src1_sel:DWORD
	v_mov_b32_e32 v59, v64
	s_cmp_lg_u64 s[14:15], exec
	s_mov_b64 s[14:15], -1
                                        ; implicit-def: $vgpr64
                                        ; implicit-def: $vgpr48
	s_cbranch_scc1 .LBB93_90
; %bb.92:                               ;   in Loop: Header=BB93_91 Depth=1
	s_waitcnt lgkmcnt(0)
	v_lshlrev_b64 v[17:18], 2, v[13:14]
	v_mov_b32_e32 v48, s21
	v_add_co_u32_e32 v17, vcc, s20, v17
	v_addc_co_u32_e32 v18, vcc, v48, v18, vcc
	global_load_dword v64, v[17:18], off glc
	s_waitcnt vmcnt(0)
	v_lshrrev_b32_e32 v48, 16, v64
	v_cmp_eq_u16_sdwa s[22:23], v48, v14 src0_sel:BYTE_0 src1_sel:DWORD
	s_and_saveexec_b64 s[14:15], s[22:23]
	s_cbranch_execz .LBB93_96
; %bb.93:                               ;   in Loop: Header=BB93_91 Depth=1
	s_mov_b64 s[22:23], 0
.LBB93_94:                              ;   Parent Loop BB93_91 Depth=1
                                        ; =>  This Inner Loop Header: Depth=2
	global_load_dword v64, v[17:18], off glc
	s_waitcnt vmcnt(0)
	v_lshrrev_b32_e32 v48, 16, v64
	v_cmp_ne_u16_sdwa s[26:27], v48, v14 src0_sel:BYTE_0 src1_sel:DWORD
	s_or_b64 s[22:23], s[26:27], s[22:23]
	s_andn2_b64 exec, exec, s[22:23]
	s_cbranch_execnz .LBB93_94
; %bb.95:                               ;   in Loop: Header=BB93_91 Depth=1
	s_or_b64 exec, exec, s[22:23]
.LBB93_96:                              ;   in Loop: Header=BB93_91 Depth=1
	s_or_b64 exec, exec, s[14:15]
	v_cmp_eq_u16_sdwa s[14:15], v48, v62 src0_sel:BYTE_0 src1_sel:DWORD
	v_and_b32_e32 v17, s15, v16
	v_and_b32_e32 v18, 0xffff, v64
	v_or_b32_e32 v17, 0x80000000, v17
	ds_bpermute_b32 v65, v49, v18
	v_and_b32_e32 v66, s14, v15
	v_ffbl_b32_e32 v17, v17
	v_add_u32_e32 v17, 32, v17
	v_ffbl_b32_e32 v66, v66
	v_min_u32_e32 v17, v66, v17
	v_cmp_le_u32_e32 vcc, v50, v17
	s_and_saveexec_b64 s[14:15], vcc
	s_cbranch_execz .LBB93_98
; %bb.97:                               ;   in Loop: Header=BB93_91 Depth=1
	s_waitcnt lgkmcnt(0)
	v_lshlrev_b32_e32 v64, 16, v65
	v_lshlrev_b32_e32 v18, 16, v18
	v_mul_f32_e32 v18, v18, v64
	v_bfe_u32 v64, v18, 16, 1
	v_add3_u32 v64, v18, v64, s7
	v_cmp_o_f32_e32 vcc, v18, v18
	v_cndmask_b32_sdwa v64, v63, v64, vcc dst_sel:DWORD dst_unused:UNUSED_PAD src0_sel:DWORD src1_sel:WORD_1
	v_and_b32_e32 v18, 0xffff, v64
.LBB93_98:                              ;   in Loop: Header=BB93_91 Depth=1
	s_or_b64 exec, exec, s[14:15]
	s_waitcnt lgkmcnt(0)
	ds_bpermute_b32 v65, v51, v18
	v_cmp_le_u32_e32 vcc, v52, v17
	s_and_saveexec_b64 s[14:15], vcc
	s_cbranch_execz .LBB93_100
; %bb.99:                               ;   in Loop: Header=BB93_91 Depth=1
	s_waitcnt lgkmcnt(0)
	v_lshlrev_b32_e32 v64, 16, v65
	v_lshlrev_b32_e32 v18, 16, v18
	v_mul_f32_e32 v18, v18, v64
	v_bfe_u32 v64, v18, 16, 1
	v_add3_u32 v64, v18, v64, s7
	v_cmp_o_f32_e32 vcc, v18, v18
	v_cndmask_b32_sdwa v64, v63, v64, vcc dst_sel:DWORD dst_unused:UNUSED_PAD src0_sel:DWORD src1_sel:WORD_1
	v_and_b32_e32 v18, 0xffff, v64
.LBB93_100:                             ;   in Loop: Header=BB93_91 Depth=1
	s_or_b64 exec, exec, s[14:15]
	s_waitcnt lgkmcnt(0)
	ds_bpermute_b32 v65, v53, v18
	v_cmp_le_u32_e32 vcc, v54, v17
	s_and_saveexec_b64 s[14:15], vcc
	s_cbranch_execz .LBB93_102
; %bb.101:                              ;   in Loop: Header=BB93_91 Depth=1
	s_waitcnt lgkmcnt(0)
	v_lshlrev_b32_e32 v64, 16, v65
	v_lshlrev_b32_e32 v18, 16, v18
	v_mul_f32_e32 v18, v18, v64
	v_bfe_u32 v64, v18, 16, 1
	v_add3_u32 v64, v18, v64, s7
	v_cmp_o_f32_e32 vcc, v18, v18
	v_cndmask_b32_sdwa v64, v63, v64, vcc dst_sel:DWORD dst_unused:UNUSED_PAD src0_sel:DWORD src1_sel:WORD_1
	v_and_b32_e32 v18, 0xffff, v64
.LBB93_102:                             ;   in Loop: Header=BB93_91 Depth=1
	s_or_b64 exec, exec, s[14:15]
	s_waitcnt lgkmcnt(0)
	ds_bpermute_b32 v65, v55, v18
	v_cmp_le_u32_e32 vcc, v56, v17
	s_and_saveexec_b64 s[14:15], vcc
	s_cbranch_execz .LBB93_104
; %bb.103:                              ;   in Loop: Header=BB93_91 Depth=1
	s_waitcnt lgkmcnt(0)
	v_lshlrev_b32_e32 v64, 16, v65
	v_lshlrev_b32_e32 v18, 16, v18
	v_mul_f32_e32 v18, v18, v64
	v_bfe_u32 v64, v18, 16, 1
	v_add3_u32 v64, v18, v64, s7
	v_cmp_o_f32_e32 vcc, v18, v18
	v_cndmask_b32_sdwa v64, v63, v64, vcc dst_sel:DWORD dst_unused:UNUSED_PAD src0_sel:DWORD src1_sel:WORD_1
	v_and_b32_e32 v18, 0xffff, v64
.LBB93_104:                             ;   in Loop: Header=BB93_91 Depth=1
	;; [unrolled: 17-line block ×3, first 2 shown]
	s_or_b64 exec, exec, s[14:15]
	s_waitcnt lgkmcnt(0)
	ds_bpermute_b32 v65, v60, v18
	v_cmp_le_u32_e32 vcc, v61, v17
	s_and_saveexec_b64 s[14:15], vcc
	s_cbranch_execz .LBB93_89
; %bb.107:                              ;   in Loop: Header=BB93_91 Depth=1
	s_waitcnt lgkmcnt(0)
	v_lshlrev_b32_e32 v17, 16, v65
	v_lshlrev_b32_e32 v18, 16, v18
	v_mul_f32_e32 v17, v18, v17
	v_bfe_u32 v18, v17, 16, 1
	v_add3_u32 v18, v17, v18, s7
	v_cmp_o_f32_e32 vcc, v17, v17
	v_cndmask_b32_sdwa v64, v63, v18, vcc dst_sel:DWORD dst_unused:UNUSED_PAD src0_sel:DWORD src1_sel:WORD_1
	s_branch .LBB93_89
.LBB93_108:
                                        ; implicit-def: $vgpr13
                                        ; implicit-def: $vgpr14
                                        ; implicit-def: $vgpr15
                                        ; implicit-def: $vgpr16
                                        ; implicit-def: $vgpr17
                                        ; implicit-def: $vgpr18
                                        ; implicit-def: $vgpr22
                                        ; implicit-def: $vgpr23
                                        ; implicit-def: $vgpr24
                                        ; implicit-def: $vgpr25
                                        ; implicit-def: $vgpr26
                                        ; implicit-def: $vgpr45
                                        ; implicit-def: $vgpr27
                                        ; implicit-def: $vgpr33
                                        ; implicit-def: $vgpr28
                                        ; implicit-def: $vgpr34
                                        ; implicit-def: $vgpr29
                                        ; implicit-def: $vgpr35
                                        ; implicit-def: $vgpr30
                                        ; implicit-def: $vgpr36
                                        ; implicit-def: $vgpr31
                                        ; implicit-def: $vgpr37
                                        ; implicit-def: $vgpr32
                                        ; implicit-def: $vgpr38
	s_load_dwordx4 s[12:15], s[4:5], 0x30
	s_cbranch_execnz .LBB93_116
	s_branch .LBB93_137
.LBB93_109:
	s_and_saveexec_b64 s[14:15], s[8:9]
	s_cbranch_execz .LBB93_111
; %bb.110:
	v_lshlrev_b32_e32 v13, 16, v59
	v_lshlrev_b32_e32 v14, 16, v47
	v_mul_f32_e32 v13, v14, v13
	v_bfe_u32 v14, v13, 16, 1
	s_movk_i32 s7, 0x7fff
	v_add3_u32 v14, v13, v14, s7
	s_add_i32 s6, s6, 64
	s_mov_b32 s7, 0
	s_lshl_b64 s[6:7], s[6:7], 2
	s_mov_b32 s8, 0x20000
	s_add_u32 s6, s20, s6
	v_or_b32_sdwa v14, v14, s8 dst_sel:DWORD dst_unused:UNUSED_PAD src0_sel:WORD_1 src1_sel:DWORD
	v_mov_b32_e32 v16, 0x27fc0
	v_cmp_o_f32_e32 vcc, v13, v13
	s_addc_u32 s7, s21, s7
	v_mov_b32_e32 v15, 0
	v_cndmask_b32_e32 v13, v16, v14, vcc
	global_store_dword v15, v13, s[6:7]
.LBB93_111:
	s_or_b64 exec, exec, s[14:15]
	s_and_b64 exec, exec, s[2:3]
; %bb.112:
	v_mov_b32_e32 v13, 0
	ds_write_b16 v13, v59
.LBB93_113:
	s_or_b64 exec, exec, s[12:13]
	v_mov_b32_e32 v13, 0
	s_waitcnt vmcnt(0) lgkmcnt(0)
	s_barrier
	ds_read_u16 v13, v13
	s_and_saveexec_b64 s[2:3], s[0:1]
; %bb.114:
	v_lshlrev_b32_e32 v14, 16, v46
	v_mul_f32_e32 v14, v45, v14
	v_bfe_u32 v15, v14, 16, 1
	s_movk_i32 s0, 0x7fff
	v_add3_u32 v15, v14, v15, s0
	v_and_b32_e32 v15, 0xffff0000, v15
	v_mov_b32_e32 v16, 0x7fc00000
	v_cmp_o_f32_e32 vcc, v14, v14
	v_cndmask_b32_e32 v45, v16, v15, vcc
; %bb.115:
	s_or_b64 exec, exec, s[2:3]
	s_waitcnt lgkmcnt(0)
	v_lshlrev_b32_e32 v13, 16, v13
	v_mul_f32_e32 v13, v45, v13
	v_bfe_u32 v14, v13, 16, 1
	s_movk_i32 s0, 0x7fff
	v_add3_u32 v14, v13, v14, s0
	v_cmp_o_f32_e32 vcc, v13, v13
	v_mov_b32_e32 v46, 0x7fc0
	v_cndmask_b32_sdwa v13, v46, v14, vcc dst_sel:DWORD dst_unused:UNUSED_PAD src0_sel:DWORD src1_sel:WORD_1
	v_lshlrev_b32_e32 v14, 16, v13
	v_mul_f32_e32 v14, v22, v14
	v_bfe_u32 v15, v14, 16, 1
	v_add3_u32 v15, v14, v15, s0
	v_cmp_o_f32_e32 vcc, v14, v14
	v_cndmask_b32_sdwa v14, v46, v15, vcc dst_sel:DWORD dst_unused:UNUSED_PAD src0_sel:DWORD src1_sel:WORD_1
	v_lshlrev_b32_e32 v15, 16, v14
	v_mul_f32_e32 v15, v23, v15
	v_bfe_u32 v16, v15, 16, 1
	v_add3_u32 v16, v15, v16, s0
	v_cmp_o_f32_e32 vcc, v15, v15
	;; [unrolled: 6-line block ×23, first 2 shown]
	v_cndmask_b32_sdwa v38, v46, v39, vcc dst_sel:DWORD dst_unused:UNUSED_PAD src0_sel:DWORD src1_sel:WORD_1
	s_load_dwordx4 s[12:15], s[4:5], 0x30
	s_branch .LBB93_137
.LBB93_116:
	s_load_dword s6, s[4:5], 0x40
	v_cmp_eq_u32_e64 s[0:1], 0, v0
	v_cmp_ne_u32_e64 s[2:3], 0, v0
	v_mov_b32_e32 v13, v9
	s_waitcnt lgkmcnt(0)
	s_bitcmp1_b32 s6, 0
	s_cselect_b64 s[6:7], -1, 0
	s_and_b64 s[8:9], s[0:1], s[6:7]
	s_and_saveexec_b64 s[6:7], s[8:9]
	s_cbranch_execz .LBB93_118
; %bb.117:
	v_mov_b32_e32 v13, 0
	global_load_ushort v13, v13, s[12:13]
	v_lshlrev_b32_e32 v14, 16, v9
	s_movk_i32 s8, 0x7fff
	v_mov_b32_e32 v15, 0x7fc0
	s_waitcnt vmcnt(0)
	v_lshlrev_b32_e32 v13, 16, v13
	v_mul_f32_e32 v13, v14, v13
	v_bfe_u32 v14, v13, 16, 1
	v_cmp_o_f32_e32 vcc, v13, v13
	v_add3_u32 v13, v13, v14, s8
	v_cndmask_b32_sdwa v13, v15, v13, vcc dst_sel:DWORD dst_unused:UNUSED_PAD src0_sel:DWORD src1_sel:WORD_1
.LBB93_118:
	s_or_b64 exec, exec, s[6:7]
	v_mov_b32_e32 v23, 16
	v_lshlrev_b32_e32 v16, 16, v13
	v_lshlrev_b32_sdwa v14, v23, v9 dst_sel:DWORD dst_unused:UNUSED_PAD src0_sel:DWORD src1_sel:WORD_1
	v_mul_f32_e32 v17, v14, v16
	v_bfe_u32 v9, v17, 16, 1
	s_movk_i32 s8, 0x7fff
	v_add3_u32 v18, v17, v9, s8
	v_and_b32_e32 v9, 0xffff0000, v18
	v_mov_b32_e32 v34, 0x7fc00000
	v_cmp_o_f32_e32 vcc, v17, v17
	v_cndmask_b32_e32 v9, v34, v9, vcc
	v_lshlrev_b32_sdwa v15, v23, v10 dst_sel:DWORD dst_unused:UNUSED_PAD src0_sel:DWORD src1_sel:WORD_0
	v_mul_f32_e32 v9, v9, v15
	v_bfe_u32 v22, v9, 16, 1
	v_add3_u32 v22, v9, v22, s8
	v_and_b32_e32 v22, 0xffff0000, v22
	v_cmp_o_f32_e32 vcc, v9, v9
	v_cndmask_b32_e32 v22, v34, v22, vcc
	v_lshlrev_b32_sdwa v9, v23, v10 dst_sel:DWORD dst_unused:UNUSED_PAD src0_sel:DWORD src1_sel:WORD_1
	v_mul_f32_e32 v10, v22, v9
	v_bfe_u32 v22, v10, 16, 1
	v_add3_u32 v22, v10, v22, s8
	v_and_b32_e32 v22, 0xffff0000, v22
	v_cmp_o_f32_e32 vcc, v10, v10
	v_cndmask_b32_e32 v22, v34, v22, vcc
	v_lshlrev_b32_sdwa v10, v23, v11 dst_sel:DWORD dst_unused:UNUSED_PAD src0_sel:DWORD src1_sel:WORD_0
	v_mul_f32_e32 v22, v22, v10
	v_bfe_u32 v24, v22, 16, 1
	v_add3_u32 v24, v22, v24, s8
	v_and_b32_e32 v24, 0xffff0000, v24
	v_cmp_o_f32_e32 vcc, v22, v22
	v_cndmask_b32_e32 v22, v34, v24, vcc
	v_lshlrev_b32_sdwa v11, v23, v11 dst_sel:DWORD dst_unused:UNUSED_PAD src0_sel:DWORD src1_sel:WORD_1
	v_mul_f32_e32 v22, v22, v11
	v_bfe_u32 v24, v22, 16, 1
	v_add3_u32 v24, v22, v24, s8
	v_and_b32_e32 v24, 0xffff0000, v24
	;; [unrolled: 14-line block ×10, first 2 shown]
	v_cmp_o_f32_e32 vcc, v25, v25
	v_cndmask_b32_e32 v25, v34, v32, vcc
	v_lshlrev_b32_sdwa v32, v23, v4 dst_sel:DWORD dst_unused:UNUSED_PAD src0_sel:DWORD src1_sel:WORD_0
	v_mul_f32_e32 v25, v25, v32
	v_bfe_u32 v33, v25, 16, 1
	v_add3_u32 v33, v25, v33, s8
	v_and_b32_e32 v33, 0xffff0000, v33
	v_cmp_o_f32_e32 vcc, v25, v25
	v_cndmask_b32_e32 v25, v34, v33, vcc
	v_lshlrev_b32_sdwa v4, v23, v4 dst_sel:DWORD dst_unused:UNUSED_PAD src0_sel:DWORD src1_sel:WORD_1
	v_mul_f32_e32 v23, v25, v4
	v_bfe_u32 v25, v23, 16, 1
	v_add3_u32 v25, v23, v25, s8
	v_lshrrev_b32_e32 v25, 16, v25
	v_mov_b32_e32 v36, 0x7fc0
	v_cmp_o_f32_e32 vcc, v23, v23
	v_and_b32_e32 v21, 14, v21
	v_cndmask_b32_e32 v23, v36, v25, vcc
	v_lshl_add_u32 v21, v0, 1, v21
	v_cmp_gt_u32_e32 vcc, 64, v0
	ds_write_b16 v21, v23
	s_waitcnt lgkmcnt(0)
	s_barrier
	s_and_saveexec_b64 s[6:7], vcc
	s_cbranch_execz .LBB93_132
; %bb.119:
	v_lshrrev_b32_e32 v21, 2, v0
	v_and_b32_e32 v21, 62, v21
	v_lshlrev_b32_e32 v25, 3, v0
	v_add_u32_e32 v21, v21, v25
	ds_read_b64 v[37:38], v21
	s_waitcnt lgkmcnt(0)
	v_and_b32_e32 v25, 0xffff0000, v37
	v_lshlrev_b32_e32 v35, 16, v37
	v_mul_f32_e32 v37, v35, v25
	v_bfe_u32 v39, v37, 16, 1
	v_add3_u32 v39, v37, v39, s8
	v_and_b32_e32 v39, 0xffff0000, v39
	v_cmp_o_f32_e32 vcc, v37, v37
	v_lshlrev_b32_e32 v33, 16, v38
	v_cndmask_b32_e32 v37, v34, v39, vcc
	v_mul_f32_e32 v37, v37, v33
	v_bfe_u32 v39, v37, 16, 1
	v_add3_u32 v39, v37, v39, s8
	v_and_b32_e32 v39, 0xffff0000, v39
	v_cmp_o_f32_e32 vcc, v37, v37
	v_cndmask_b32_e32 v37, v34, v39, vcc
	v_and_b32_e32 v34, 0xffff0000, v38
	v_mul_f32_e32 v37, v37, v34
	v_bfe_u32 v38, v37, 16, 1
	v_add3_u32 v38, v37, v38, s8
	v_lshrrev_b32_e32 v38, 16, v38
	v_cmp_o_f32_e32 vcc, v37, v37
	v_cndmask_b32_e32 v37, v36, v38, vcc
	v_mbcnt_lo_u32_b32 v36, -1, 0
	v_mbcnt_hi_u32_b32 v36, -1, v36
	v_and_b32_e32 v39, 15, v36
	v_and_b32_e32 v38, 0xffff, v37
	v_cmp_ne_u32_e32 vcc, 0, v39
	s_nop 0
	v_mov_b32_dpp v40, v38 row_shr:1 row_mask:0xf bank_mask:0xf
	s_and_saveexec_b64 s[8:9], vcc
	s_cbranch_execz .LBB93_121
; %bb.120:
	v_lshlrev_b32_e32 v37, 16, v40
	v_lshlrev_b32_e32 v38, 16, v38
	v_mul_f32_e32 v37, v37, v38
	v_bfe_u32 v38, v37, 16, 1
	s_movk_i32 s12, 0x7fff
	v_add3_u32 v38, v37, v38, s12
	v_cmp_o_f32_e32 vcc, v37, v37
	v_mov_b32_e32 v37, 0x7fc0
	v_cndmask_b32_sdwa v37, v37, v38, vcc dst_sel:DWORD dst_unused:UNUSED_PAD src0_sel:DWORD src1_sel:WORD_1
	v_and_b32_e32 v38, 0xffff, v37
.LBB93_121:
	s_or_b64 exec, exec, s[8:9]
	s_nop 0
	v_mov_b32_dpp v40, v38 row_shr:2 row_mask:0xf bank_mask:0xf
	v_cmp_lt_u32_e32 vcc, 1, v39
	s_and_saveexec_b64 s[8:9], vcc
	s_cbranch_execz .LBB93_123
; %bb.122:
	v_lshlrev_b32_e32 v37, 16, v40
	v_lshlrev_b32_e32 v38, 16, v38
	v_mul_f32_e32 v37, v38, v37
	v_bfe_u32 v38, v37, 16, 1
	s_movk_i32 s12, 0x7fff
	v_add3_u32 v38, v37, v38, s12
	v_cmp_o_f32_e32 vcc, v37, v37
	v_mov_b32_e32 v37, 0x7fc0
	v_cndmask_b32_sdwa v37, v37, v38, vcc dst_sel:DWORD dst_unused:UNUSED_PAD src0_sel:DWORD src1_sel:WORD_1
	v_and_b32_e32 v38, 0xffff, v37
.LBB93_123:
	s_or_b64 exec, exec, s[8:9]
	s_nop 0
	v_mov_b32_dpp v40, v38 row_shr:4 row_mask:0xf bank_mask:0xf
	v_cmp_lt_u32_e32 vcc, 3, v39
	;; [unrolled: 18-line block ×3, first 2 shown]
	s_and_saveexec_b64 s[8:9], vcc
	s_cbranch_execz .LBB93_127
; %bb.126:
	v_lshlrev_b32_e32 v37, 16, v40
	v_lshlrev_b32_e32 v38, 16, v38
	v_mul_f32_e32 v37, v38, v37
	v_bfe_u32 v38, v37, 16, 1
	s_movk_i32 s12, 0x7fff
	v_add3_u32 v38, v37, v38, s12
	v_cmp_o_f32_e32 vcc, v37, v37
	v_mov_b32_e32 v37, 0x7fc0
	v_cndmask_b32_sdwa v37, v37, v38, vcc dst_sel:DWORD dst_unused:UNUSED_PAD src0_sel:DWORD src1_sel:WORD_1
	v_and_b32_e32 v38, 0xffff, v37
.LBB93_127:
	s_or_b64 exec, exec, s[8:9]
	v_and_b32_e32 v40, 16, v36
	v_mov_b32_dpp v39, v38 row_bcast:15 row_mask:0xf bank_mask:0xf
	v_cmp_ne_u32_e32 vcc, 0, v40
	s_and_saveexec_b64 s[8:9], vcc
	s_cbranch_execz .LBB93_129
; %bb.128:
	v_lshlrev_b32_e32 v37, 16, v39
	v_lshlrev_b32_e32 v38, 16, v38
	v_mul_f32_e32 v37, v38, v37
	v_bfe_u32 v38, v37, 16, 1
	s_movk_i32 s12, 0x7fff
	v_add3_u32 v38, v37, v38, s12
	v_cmp_o_f32_e32 vcc, v37, v37
	v_mov_b32_e32 v37, 0x7fc0
	v_cndmask_b32_sdwa v37, v37, v38, vcc dst_sel:DWORD dst_unused:UNUSED_PAD src0_sel:DWORD src1_sel:WORD_1
	v_and_b32_e32 v38, 0xffff, v37
.LBB93_129:
	s_or_b64 exec, exec, s[8:9]
	s_nop 0
	v_mov_b32_dpp v39, v38 row_bcast:31 row_mask:0xf bank_mask:0xf
	v_cmp_lt_u32_e32 vcc, 31, v36
	s_and_saveexec_b64 s[8:9], vcc
; %bb.130:
	v_lshlrev_b32_e32 v37, 16, v39
	v_lshlrev_b32_e32 v38, 16, v38
	v_mul_f32_e32 v37, v38, v37
	v_bfe_u32 v38, v37, 16, 1
	s_movk_i32 s12, 0x7fff
	v_add3_u32 v38, v37, v38, s12
	v_cmp_o_f32_e32 vcc, v37, v37
	v_mov_b32_e32 v37, 0x7fc0
	v_cndmask_b32_sdwa v37, v37, v38, vcc dst_sel:DWORD dst_unused:UNUSED_PAD src0_sel:DWORD src1_sel:WORD_1
; %bb.131:
	s_or_b64 exec, exec, s[8:9]
	v_add_u32_e32 v38, -1, v36
	v_and_b32_e32 v39, 64, v36
	v_cmp_lt_i32_e32 vcc, v38, v39
	v_cndmask_b32_e32 v36, v38, v36, vcc
	v_lshlrev_b32_e32 v36, 2, v36
	v_and_b32_e32 v37, 0xffff, v37
	ds_bpermute_b32 v36, v36, v37
	s_movk_i32 s8, 0x7fff
	s_waitcnt lgkmcnt(0)
	v_lshlrev_b32_e32 v36, 16, v36
	v_mul_f32_e32 v35, v35, v36
	v_bfe_u32 v36, v35, 16, 1
	v_add3_u32 v36, v35, v36, s8
	v_cmp_o_f32_e32 vcc, v35, v35
	v_mov_b32_e32 v35, 0x7fc0
	v_cndmask_b32_sdwa v36, v35, v36, vcc dst_sel:DWORD dst_unused:UNUSED_PAD src0_sel:DWORD src1_sel:WORD_1
	v_cndmask_b32_e64 v23, v36, v23, s[0:1]
	v_lshlrev_b32_e32 v36, 16, v23
	v_mul_f32_e32 v25, v25, v36
	v_bfe_u32 v36, v25, 16, 1
	v_add3_u32 v36, v25, v36, s8
	v_cmp_o_f32_e32 vcc, v25, v25
	v_cndmask_b32_sdwa v25, v35, v36, vcc dst_sel:DWORD dst_unused:UNUSED_PAD src0_sel:DWORD src1_sel:WORD_1
	v_lshlrev_b32_e32 v36, 16, v25
	v_mul_f32_e32 v33, v33, v36
	v_bfe_u32 v36, v33, 16, 1
	v_add3_u32 v36, v33, v36, s8
	v_cmp_o_f32_e32 vcc, v33, v33
	v_cndmask_b32_sdwa v33, v35, v36, vcc dst_sel:DWORD dst_unused:UNUSED_PAD src0_sel:DWORD src1_sel:WORD_1
	;; [unrolled: 6-line block ×3, first 2 shown]
	s_mov_b32 s8, 0x5040100
	v_perm_b32 v34, v34, v33, s8
	v_perm_b32 v33, v25, v23, s8
	ds_write_b64 v21, v[33:34]
.LBB93_132:
	s_or_b64 exec, exec, s[6:7]
	s_waitcnt lgkmcnt(0)
	s_barrier
	s_and_saveexec_b64 s[6:7], s[2:3]
	s_cbranch_execz .LBB93_134
; %bb.133:
	v_add_u32_e32 v13, -1, v0
	v_lshrrev_b32_e32 v17, 4, v13
	v_and_b32_e32 v17, 0xffffffe, v17
	v_lshl_add_u32 v13, v13, 1, v17
	ds_read_u16 v13, v13
	s_movk_i32 s2, 0x7fff
	v_mov_b32_e32 v17, 0x7fc0
	s_waitcnt lgkmcnt(0)
	v_lshlrev_b32_e32 v13, 16, v13
	v_mul_f32_e32 v13, v16, v13
	v_bfe_u32 v16, v13, 16, 1
	v_cmp_o_f32_e32 vcc, v13, v13
	v_add3_u32 v13, v13, v16, s2
	v_cndmask_b32_sdwa v13, v17, v13, vcc dst_sel:DWORD dst_unused:UNUSED_PAD src0_sel:DWORD src1_sel:WORD_1
	v_lshlrev_b32_e32 v16, 16, v13
	v_mul_f32_e32 v17, v14, v16
	v_bfe_u32 v14, v17, 16, 1
	v_add3_u32 v18, v17, v14, s2
.LBB93_134:
	s_or_b64 exec, exec, s[6:7]
	v_cmp_o_f32_e32 vcc, v17, v17
	v_mov_b32_e32 v21, 0x7fc0
	v_cndmask_b32_sdwa v14, v21, v18, vcc dst_sel:DWORD dst_unused:UNUSED_PAD src0_sel:DWORD src1_sel:WORD_1
	v_lshlrev_b32_e32 v16, 16, v14
	v_mul_f32_e32 v15, v15, v16
	v_bfe_u32 v16, v15, 16, 1
	s_movk_i32 s2, 0x7fff
	v_add3_u32 v16, v15, v16, s2
	v_cmp_o_f32_e32 vcc, v15, v15
	v_cndmask_b32_sdwa v15, v21, v16, vcc dst_sel:DWORD dst_unused:UNUSED_PAD src0_sel:DWORD src1_sel:WORD_1
	v_lshlrev_b32_e32 v16, 16, v15
	v_mul_f32_e32 v9, v9, v16
	v_bfe_u32 v16, v9, 16, 1
	v_add3_u32 v16, v9, v16, s2
	v_cmp_o_f32_e32 vcc, v9, v9
	v_cndmask_b32_sdwa v16, v21, v16, vcc dst_sel:DWORD dst_unused:UNUSED_PAD src0_sel:DWORD src1_sel:WORD_1
	v_lshlrev_b32_e32 v9, 16, v16
	v_mul_f32_e32 v9, v10, v9
	v_bfe_u32 v10, v9, 16, 1
	;; [unrolled: 6-line block ×21, first 2 shown]
	v_add3_u32 v1, v2, v1, s2
	v_cmp_o_f32_e32 vcc, v2, v2
	s_and_saveexec_b64 s[2:3], s[0:1]
	s_cbranch_execz .LBB93_136
; %bb.135:
	v_mov_b32_e32 v2, 0
	ds_read_u16 v3, v2 offset:524
	s_waitcnt lgkmcnt(0)
	v_or_b32_e32 v3, 0x20000, v3
	global_store_dword v2, v3, s[20:21] offset:256
.LBB93_136:
	s_or_b64 exec, exec, s[2:3]
	v_cndmask_b32_sdwa v38, v21, v1, vcc dst_sel:DWORD dst_unused:UNUSED_PAD src0_sel:DWORD src1_sel:WORD_1
.LBB93_137:
	s_add_u32 s0, s10, s18
	s_addc_u32 s1, s11, s19
	s_mov_b64 s[2:3], -1
	s_and_b64 vcc, exec, s[16:17]
	s_waitcnt vmcnt(0) lgkmcnt(0)
	s_barrier
	s_cbranch_vccz .LBB93_139
; %bb.138:
	s_mov_b32 s2, 0x5040100
	v_perm_b32 v4, v23, v22, s2
	v_perm_b32 v3, v18, v17, s2
	v_perm_b32 v2, v16, v15, s2
	v_perm_b32 v1, v14, v13, s2
	ds_write_b128 v20, v[1:4]
	v_perm_b32 v4, v34, v28, s2
	v_perm_b32 v3, v33, v27, s2
	;; [unrolled: 1-line block ×4, first 2 shown]
	ds_write_b128 v20, v[1:4] offset:16
	v_perm_b32 v4, v38, v32, s2
	v_perm_b32 v3, v37, v31, s2
	;; [unrolled: 1-line block ×4, first 2 shown]
	v_mov_b32_e32 v51, s1
	v_add_co_u32_e32 v52, vcc, s0, v19
	ds_write_b128 v20, v[1:4] offset:32
	s_waitcnt lgkmcnt(0)
	s_barrier
	ds_read_u16 v1, v19
	ds_read_u16 v2, v19 offset:512
	ds_read_u16 v3, v19 offset:1024
	;; [unrolled: 1-line block ×23, first 2 shown]
	v_addc_co_u32_e32 v51, vcc, 0, v51, vcc
	s_movk_i32 s2, 0x1000
	s_waitcnt lgkmcnt(14)
	global_store_short v19, v1, s[0:1]
	global_store_short v19, v2, s[0:1] offset:512
	global_store_short v19, v3, s[0:1] offset:1024
	;; [unrolled: 1-line block ×7, first 2 shown]
	v_add_co_u32_e32 v1, vcc, s2, v52
	v_addc_co_u32_e32 v2, vcc, 0, v51, vcc
	global_store_short v[1:2], v9, off
	global_store_short v[1:2], v10, off offset:512
	s_waitcnt lgkmcnt(13)
	global_store_short v[1:2], v11, off offset:1024
	s_waitcnt lgkmcnt(12)
	;; [unrolled: 2-line block ×6, first 2 shown]
	global_store_short v[1:2], v41, off offset:3584
	v_add_co_u32_e32 v1, vcc, 0x2000, v52
	v_addc_co_u32_e32 v2, vcc, 0, v51, vcc
	s_waitcnt lgkmcnt(7)
	global_store_short v[1:2], v42, off
	s_waitcnt lgkmcnt(6)
	global_store_short v[1:2], v43, off offset:512
	s_waitcnt lgkmcnt(5)
	global_store_short v[1:2], v44, off offset:1024
	;; [unrolled: 2-line block ×7, first 2 shown]
	s_mov_b64 s[2:3], 0
.LBB93_139:
	s_andn2_b64 vcc, exec, s[2:3]
	s_cbranch_vccnz .LBB93_196
; %bb.140:
	s_mov_b32 s2, 0x5040100
	v_perm_b32 v4, v23, v22, s2
	v_perm_b32 v3, v18, v17, s2
	;; [unrolled: 1-line block ×4, first 2 shown]
	ds_write_b128 v20, v[1:4]
	v_perm_b32 v4, v34, v28, s2
	v_perm_b32 v3, v33, v27, s2
	;; [unrolled: 1-line block ×4, first 2 shown]
	ds_write_b128 v20, v[1:4] offset:16
	v_perm_b32 v4, v38, v32, s2
	v_perm_b32 v3, v37, v31, s2
	;; [unrolled: 1-line block ×4, first 2 shown]
	ds_write_b128 v20, v[1:4] offset:32
	s_waitcnt vmcnt(0) lgkmcnt(0)
	s_barrier
	ds_read_u16 v5, v19
	ds_read_u16 v4, v19 offset:512
	ds_read_u16 v7, v19 offset:1024
	;; [unrolled: 1-line block ×23, first 2 shown]
	v_mov_b32_e32 v3, s1
	v_add_co_u32_e32 v2, vcc, s0, v19
	v_addc_co_u32_e32 v3, vcc, 0, v3, vcc
	v_mov_b32_e32 v1, 0
	v_cmp_gt_u32_e32 vcc, s24, v0
	s_and_saveexec_b64 s[0:1], vcc
	s_cbranch_execz .LBB93_142
; %bb.141:
	s_waitcnt lgkmcnt(14)
	global_store_short v[2:3], v5, off
.LBB93_142:
	s_or_b64 exec, exec, s[0:1]
	v_or_b32_e32 v19, 0x100, v0
	v_cmp_gt_u32_e32 vcc, s24, v19
	s_and_saveexec_b64 s[0:1], vcc
	s_cbranch_execz .LBB93_144
; %bb.143:
	s_waitcnt lgkmcnt(14)
	global_store_short v[2:3], v4, off offset:512
.LBB93_144:
	s_or_b64 exec, exec, s[0:1]
	v_or_b32_e32 v19, 0x200, v0
	v_cmp_gt_u32_e32 vcc, s24, v19
	s_and_saveexec_b64 s[0:1], vcc
	s_cbranch_execz .LBB93_146
; %bb.145:
	s_waitcnt lgkmcnt(14)
	global_store_short v[2:3], v7, off offset:1024
.LBB93_146:
	;; [unrolled: 9-line block ×7, first 2 shown]
	s_or_b64 exec, exec, s[0:1]
	v_or_b32_e32 v19, 0x800, v0
	v_cmp_gt_u32_e32 vcc, s24, v19
	s_and_saveexec_b64 s[0:1], vcc
	s_cbranch_execz .LBB93_158
; %bb.157:
	v_add_co_u32_e32 v29, vcc, 0x1000, v2
	v_addc_co_u32_e32 v30, vcc, 0, v3, vcc
	s_waitcnt lgkmcnt(14)
	global_store_short v[29:30], v18, off
.LBB93_158:
	s_or_b64 exec, exec, s[0:1]
	v_or_b32_e32 v19, 0x900, v0
	v_cmp_gt_u32_e32 vcc, s24, v19
	s_and_saveexec_b64 s[0:1], vcc
	s_cbranch_execz .LBB93_160
; %bb.159:
	v_add_co_u32_e32 v29, vcc, 0x1000, v2
	v_addc_co_u32_e32 v30, vcc, 0, v3, vcc
	s_waitcnt lgkmcnt(14)
	global_store_short v[29:30], v23, off offset:512
.LBB93_160:
	s_or_b64 exec, exec, s[0:1]
	v_or_b32_e32 v19, 0xa00, v0
	v_cmp_gt_u32_e32 vcc, s24, v19
	s_and_saveexec_b64 s[0:1], vcc
	s_cbranch_execz .LBB93_162
; %bb.161:
	v_add_co_u32_e32 v29, vcc, 0x1000, v2
	v_addc_co_u32_e32 v30, vcc, 0, v3, vcc
	s_waitcnt lgkmcnt(13)
	global_store_short v[29:30], v22, off offset:1024
.LBB93_162:
	;; [unrolled: 11-line block ×7, first 2 shown]
	s_or_b64 exec, exec, s[0:1]
	v_or_b32_e32 v19, 0x1000, v0
	v_cmp_gt_u32_e32 vcc, s24, v19
	s_and_saveexec_b64 s[0:1], vcc
	s_cbranch_execz .LBB93_174
; %bb.173:
	v_add_co_u32_e32 v29, vcc, 0x2000, v2
	v_addc_co_u32_e32 v30, vcc, 0, v3, vcc
	s_waitcnt lgkmcnt(7)
	global_store_short v[29:30], v24, off
.LBB93_174:
	s_or_b64 exec, exec, s[0:1]
	v_or_b32_e32 v19, 0x1100, v0
	v_cmp_gt_u32_e32 vcc, s24, v19
	s_and_saveexec_b64 s[0:1], vcc
	s_cbranch_execz .LBB93_176
; %bb.175:
	v_add_co_u32_e32 v29, vcc, 0x2000, v2
	v_addc_co_u32_e32 v30, vcc, 0, v3, vcc
	s_waitcnt lgkmcnt(6)
	global_store_short v[29:30], v26, off offset:512
.LBB93_176:
	s_or_b64 exec, exec, s[0:1]
	v_or_b32_e32 v19, 0x1200, v0
	v_cmp_gt_u32_e32 vcc, s24, v19
	s_and_saveexec_b64 s[0:1], vcc
	s_cbranch_execz .LBB93_178
; %bb.177:
	v_add_co_u32_e32 v29, vcc, 0x2000, v2
	v_addc_co_u32_e32 v30, vcc, 0, v3, vcc
	s_waitcnt lgkmcnt(5)
	global_store_short v[29:30], v27, off offset:1024
.LBB93_178:
	;; [unrolled: 11-line block ×7, first 2 shown]
	s_or_b64 exec, exec, s[0:1]
	s_load_dword s0, s[4:5], 0x40
	s_waitcnt lgkmcnt(0)
	s_bfe_u32 s0, s0, 0x10008
	s_cmp_eq_u32 s0, 0
	s_cbranch_scc1 .LBB93_196
; %bb.189:
	s_add_u32 s0, s24, -1
	s_addc_u32 s1, s25, -1
	s_mul_i32 s5, s1, 0xaaaaaaab
	s_mul_hi_u32 s6, s0, 0xaaaaaaab
	s_mul_hi_u32 s4, s1, 0xaaaaaaab
	s_add_u32 s5, s5, s6
	s_mul_i32 s3, s0, 0xaaaaaaaa
	s_addc_u32 s4, s4, 0
	s_mul_hi_u32 s2, s0, 0xaaaaaaaa
	s_add_u32 s3, s3, s5
	s_addc_u32 s2, s2, 0
	s_add_u32 s2, s4, s2
	s_addc_u32 s3, 0, 0
	s_mul_i32 s5, s1, 0xaaaaaaaa
	s_mul_hi_u32 s4, s1, 0xaaaaaaaa
	s_add_u32 s2, s5, s2
	s_addc_u32 s3, s4, s3
	s_lshr_b64 s[2:3], s[2:3], 4
	v_cmp_eq_u64_e32 vcc, s[2:3], v[0:1]
	s_and_saveexec_b64 s[2:3], vcc
	s_cbranch_execz .LBB93_196
; %bb.190:
	v_mul_hi_u32_u24_e32 v1, 24, v0
	v_mul_u32_u24_e32 v0, 24, v0
	v_mov_b32_e32 v2, s1
	v_sub_co_u32_e32 v0, vcc, s0, v0
	v_subb_co_u32_e32 v1, vcc, v2, v1, vcc
	v_cmp_lt_i64_e32 vcc, 11, v[0:1]
	s_mov_b64 s[0:1], 0
	s_mov_b64 s[8:9], 0
	;; [unrolled: 1-line block ×4, first 2 shown]
	s_and_saveexec_b64 s[2:3], vcc
	s_xor_b64 s[2:3], exec, s[2:3]
	s_cbranch_execnz .LBB93_197
; %bb.191:
	s_andn2_saveexec_b64 s[2:3], s[2:3]
	s_cbranch_execnz .LBB93_242
.LBB93_192:
	s_or_b64 exec, exec, s[2:3]
	s_and_saveexec_b64 s[2:3], s[8:9]
	s_cbranch_execnz .LBB93_259
.LBB93_193:
	s_or_b64 exec, exec, s[2:3]
	s_and_saveexec_b64 s[2:3], s[6:7]
	s_cbranch_execnz .LBB93_260
.LBB93_194:
	s_or_b64 exec, exec, s[2:3]
	s_and_saveexec_b64 s[2:3], s[4:5]
	s_xor_b64 s[2:3], exec, s[2:3]
	s_cbranch_execnz .LBB93_261
.LBB93_195:
	s_or_b64 exec, exec, s[2:3]
	s_and_b64 exec, exec, s[0:1]
	s_cbranch_execnz .LBB93_262
.LBB93_196:
	s_endpgm
.LBB93_197:
	v_cmp_lt_i64_e32 vcc, 17, v[0:1]
	s_and_saveexec_b64 s[10:11], vcc
	s_xor_b64 s[10:11], exec, s[10:11]
	s_cbranch_execz .LBB93_219
; %bb.198:
	v_cmp_lt_i64_e32 vcc, 20, v[0:1]
	s_and_saveexec_b64 s[12:13], vcc
	s_xor_b64 s[12:13], exec, s[12:13]
	s_cbranch_execz .LBB93_208
; %bb.199:
	v_cmp_lt_i64_e32 vcc, 21, v[0:1]
	s_mov_b64 s[16:17], 0
	s_and_saveexec_b64 s[4:5], vcc
	s_xor_b64 s[4:5], exec, s[4:5]
	s_cbranch_execz .LBB93_205
; %bb.200:
	v_cmp_lt_i64_e32 vcc, 22, v[0:1]
	s_and_saveexec_b64 s[16:17], vcc
	s_xor_b64 s[16:17], exec, s[16:17]
	s_cbranch_execz .LBB93_202
; %bb.201:
	v_mov_b32_e32 v2, 0
	global_store_short v2, v28, s[14:15]
.LBB93_202:
	s_or_saveexec_b64 s[16:17], s[16:17]
	s_mov_b64 s[18:19], 0
	s_xor_b64 exec, exec, s[16:17]
; %bb.203:
	s_mov_b64 s[18:19], exec
; %bb.204:
	s_or_b64 exec, exec, s[16:17]
	s_and_b64 s[16:17], s[18:19], exec
.LBB93_205:
	s_andn2_saveexec_b64 s[4:5], s[4:5]
; %bb.206:
	s_mov_b64 s[6:7], exec
; %bb.207:
	s_or_b64 exec, exec, s[4:5]
	s_and_b64 s[4:5], s[16:17], exec
	s_and_b64 s[6:7], s[6:7], exec
                                        ; implicit-def: $vgpr27
                                        ; implicit-def: $vgpr25
.LBB93_208:
	s_andn2_saveexec_b64 s[12:13], s[12:13]
	s_cbranch_execz .LBB93_218
; %bb.209:
	v_cmp_lt_i64_e32 vcc, 18, v[0:1]
	s_mov_b64 s[16:17], 0
	s_and_saveexec_b64 s[8:9], vcc
	s_xor_b64 s[8:9], exec, s[8:9]
	s_cbranch_execz .LBB93_215
; %bb.210:
	v_cmp_lt_i64_e32 vcc, 19, v[0:1]
	s_and_saveexec_b64 s[18:19], vcc
	s_xor_b64 s[18:19], exec, s[18:19]
; %bb.211:
	s_mov_b64 s[16:17], exec
                                        ; implicit-def: $vgpr25
; %bb.212:
	s_andn2_saveexec_b64 s[18:19], s[18:19]
	s_cbranch_execz .LBB93_214
; %bb.213:
	v_mov_b32_e32 v2, 0
	global_store_short v2, v25, s[14:15]
.LBB93_214:
	s_or_b64 exec, exec, s[18:19]
	s_and_b64 s[16:17], s[16:17], exec
                                        ; implicit-def: $vgpr27
.LBB93_215:
	s_andn2_saveexec_b64 s[8:9], s[8:9]
	s_cbranch_execz .LBB93_217
; %bb.216:
	v_mov_b32_e32 v2, 0
	global_store_short v2, v27, s[14:15]
.LBB93_217:
	s_or_b64 exec, exec, s[8:9]
	s_and_b64 s[8:9], s[16:17], exec
.LBB93_218:
	s_or_b64 exec, exec, s[12:13]
	s_and_b64 s[4:5], s[4:5], exec
	s_and_b64 s[6:7], s[6:7], exec
	;; [unrolled: 1-line block ×3, first 2 shown]
                                        ; implicit-def: $vgpr17
                                        ; implicit-def: $vgpr15
                                        ; implicit-def: $vgpr16
                                        ; implicit-def: $vgpr21
                                        ; implicit-def: $vgpr24
                                        ; implicit-def: $vgpr26
.LBB93_219:
	s_andn2_saveexec_b64 s[10:11], s[10:11]
	s_cbranch_execz .LBB93_241
; %bb.220:
	v_cmp_lt_i64_e32 vcc, 14, v[0:1]
	s_mov_b64 s[12:13], s[4:5]
	s_and_saveexec_b64 s[16:17], vcc
	s_xor_b64 s[16:17], exec, s[16:17]
	s_cbranch_execz .LBB93_230
; %bb.221:
	v_cmp_lt_i64_e32 vcc, 15, v[0:1]
	s_and_saveexec_b64 s[12:13], vcc
	s_xor_b64 s[12:13], exec, s[12:13]
	s_cbranch_execz .LBB93_227
; %bb.222:
	v_cmp_lt_i64_e32 vcc, 16, v[0:1]
	s_and_saveexec_b64 s[18:19], vcc
	s_xor_b64 s[18:19], exec, s[18:19]
	s_cbranch_execz .LBB93_224
; %bb.223:
	v_mov_b32_e32 v2, 0
	global_store_short v2, v26, s[14:15]
                                        ; implicit-def: $vgpr24
.LBB93_224:
	s_andn2_saveexec_b64 s[18:19], s[18:19]
	s_cbranch_execz .LBB93_226
; %bb.225:
	v_mov_b32_e32 v2, 0
	global_store_short v2, v24, s[14:15]
.LBB93_226:
	s_or_b64 exec, exec, s[18:19]
.LBB93_227:
	s_or_saveexec_b64 s[12:13], s[12:13]
	s_mov_b64 s[18:19], s[4:5]
	s_xor_b64 exec, exec, s[12:13]
; %bb.228:
	s_or_b64 s[18:19], s[4:5], exec
; %bb.229:
	s_or_b64 exec, exec, s[12:13]
	s_andn2_b64 s[12:13], s[4:5], exec
	s_and_b64 s[18:19], s[18:19], exec
	s_or_b64 s[12:13], s[12:13], s[18:19]
                                        ; implicit-def: $vgpr16
                                        ; implicit-def: $vgpr21
                                        ; implicit-def: $vgpr15
.LBB93_230:
	s_or_saveexec_b64 s[16:17], s[16:17]
	s_mov_b64 s[18:19], s[6:7]
                                        ; implicit-def: $vgpr11
	s_xor_b64 exec, exec, s[16:17]
	s_cbranch_execz .LBB93_240
; %bb.231:
	v_cmp_lt_i64_e32 vcc, 12, v[0:1]
	s_mov_b64 s[20:21], s[6:7]
	s_mov_b64 s[22:23], s[12:13]
	s_and_saveexec_b64 s[18:19], vcc
	s_xor_b64 s[18:19], exec, s[18:19]
	s_cbranch_execz .LBB93_237
; %bb.232:
	v_cmp_lt_i64_e32 vcc, 13, v[0:1]
	s_mov_b64 s[20:21], s[12:13]
	s_and_saveexec_b64 s[22:23], vcc
	s_xor_b64 s[22:23], exec, s[22:23]
; %bb.233:
	s_or_b64 s[20:21], s[12:13], exec
; %bb.234:
	s_or_saveexec_b64 s[22:23], s[22:23]
	s_mov_b64 s[24:25], s[6:7]
	s_xor_b64 exec, exec, s[22:23]
; %bb.235:
	s_or_b64 s[24:25], s[6:7], exec
; %bb.236:
	s_or_b64 exec, exec, s[22:23]
	s_andn2_b64 s[22:23], s[12:13], exec
	s_and_b64 s[20:21], s[20:21], exec
	s_or_b64 s[22:23], s[22:23], s[20:21]
	s_andn2_b64 s[20:21], s[6:7], exec
	s_and_b64 s[24:25], s[24:25], exec
	s_or_b64 s[20:21], s[20:21], s[24:25]
                                        ; implicit-def: $vgpr21
.LBB93_237:
	s_andn2_saveexec_b64 s[18:19], s[18:19]
; %bb.238:
	s_or_b64 s[20:21], s[20:21], exec
	v_mov_b32_e32 v16, v21
; %bb.239:
	s_or_b64 exec, exec, s[18:19]
	s_andn2_b64 s[12:13], s[12:13], exec
	s_and_b64 s[18:19], s[22:23], exec
	s_or_b64 s[12:13], s[12:13], s[18:19]
	s_andn2_b64 s[18:19], s[6:7], exec
	s_and_b64 s[20:21], s[20:21], exec
	s_or_b64 s[18:19], s[18:19], s[20:21]
	v_mov_b32_e32 v17, v15
	v_mov_b32_e32 v11, v16
.LBB93_240:
	s_or_b64 exec, exec, s[16:17]
	s_andn2_b64 s[4:5], s[4:5], exec
	s_and_b64 s[12:13], s[12:13], exec
	s_or_b64 s[4:5], s[4:5], s[12:13]
	s_andn2_b64 s[6:7], s[6:7], exec
	s_and_b64 s[12:13], s[18:19], exec
	s_or_b64 s[6:7], s[6:7], s[12:13]
	v_mov_b32_e32 v12, v17
.LBB93_241:
	s_or_b64 exec, exec, s[10:11]
	s_and_b64 s[4:5], s[4:5], exec
	s_and_b64 s[6:7], s[6:7], exec
	;; [unrolled: 1-line block ×3, first 2 shown]
                                        ; implicit-def: $vgpr18
                                        ; implicit-def: $vgpr23
                                        ; implicit-def: $vgpr20
                                        ; implicit-def: $vgpr22
                                        ; implicit-def: $vgpr13
                                        ; implicit-def: $vgpr14
	s_andn2_saveexec_b64 s[2:3], s[2:3]
	s_cbranch_execz .LBB93_192
.LBB93_242:
	v_cmp_lt_i64_e32 vcc, 5, v[0:1]
	s_mov_b64 s[12:13], -1
	s_mov_b64 s[10:11], s[8:9]
	s_mov_b64 s[16:17], s[6:7]
	;; [unrolled: 1-line block ×3, first 2 shown]
                                        ; implicit-def: $vgpr10
	s_and_saveexec_b64 s[0:1], vcc
	s_cbranch_execz .LBB93_258
; %bb.243:
	v_cmp_lt_i64_e32 vcc, 8, v[0:1]
	s_mov_b64 s[10:11], s[8:9]
                                        ; implicit-def: $vgpr10
	s_and_saveexec_b64 s[12:13], vcc
	s_xor_b64 s[12:13], exec, s[12:13]
	s_cbranch_execz .LBB93_253
; %bb.244:
	v_cmp_lt_i64_e32 vcc, 9, v[0:1]
	s_and_saveexec_b64 s[10:11], vcc
	s_xor_b64 s[10:11], exec, s[10:11]
	s_cbranch_execz .LBB93_250
; %bb.245:
	v_cmp_lt_i64_e32 vcc, 10, v[0:1]
	s_and_saveexec_b64 s[16:17], vcc
	s_xor_b64 s[16:17], exec, s[16:17]
; %bb.246:
                                        ; implicit-def: $vgpr22
; %bb.247:
	s_andn2_saveexec_b64 s[16:17], s[16:17]
; %bb.248:
	v_mov_b32_e32 v20, v22
; %bb.249:
	s_or_b64 exec, exec, s[16:17]
                                        ; implicit-def: $vgpr23
.LBB93_250:
	s_andn2_saveexec_b64 s[10:11], s[10:11]
; %bb.251:
	v_mov_b32_e32 v20, v23
; %bb.252:
	s_or_b64 exec, exec, s[10:11]
	s_or_b64 s[10:11], s[8:9], exec
	v_mov_b32_e32 v10, v20
                                        ; implicit-def: $vgpr18
.LBB93_253:
	s_or_saveexec_b64 s[12:13], s[12:13]
	s_mov_b64 s[16:17], s[6:7]
	s_mov_b64 s[20:21], s[4:5]
	s_xor_b64 exec, exec, s[12:13]
	s_cbranch_execz .LBB93_257
; %bb.254:
	v_cmp_lt_i64_e32 vcc, 6, v[0:1]
	s_mov_b64 s[20:21], -1
	s_mov_b64 s[18:19], s[10:11]
	s_mov_b64 s[16:17], s[6:7]
	s_and_saveexec_b64 s[22:23], vcc
; %bb.255:
	v_cmp_lt_i64_e32 vcc, 7, v[0:1]
	s_andn2_b64 s[18:19], s[10:11], exec
	s_and_b64 s[24:25], vcc, exec
	s_xor_b64 s[20:21], exec, -1
	s_or_b64 s[16:17], s[6:7], exec
	s_or_b64 s[18:19], s[18:19], s[24:25]
; %bb.256:
	s_or_b64 exec, exec, s[22:23]
	s_andn2_b64 s[22:23], s[4:5], exec
	s_and_b64 s[20:21], s[20:21], exec
	s_or_b64 s[20:21], s[22:23], s[20:21]
	s_andn2_b64 s[22:23], s[6:7], exec
	s_and_b64 s[16:17], s[16:17], exec
	s_andn2_b64 s[10:11], s[10:11], exec
	s_and_b64 s[18:19], s[18:19], exec
	s_or_b64 s[16:17], s[22:23], s[16:17]
	s_or_b64 s[10:11], s[10:11], s[18:19]
	v_mov_b32_e32 v10, v18
.LBB93_257:
	s_or_b64 exec, exec, s[12:13]
	s_andn2_b64 s[18:19], s[4:5], exec
	s_and_b64 s[20:21], s[20:21], exec
	s_or_b64 s[18:19], s[18:19], s[20:21]
	s_andn2_b64 s[20:21], s[6:7], exec
	s_and_b64 s[16:17], s[16:17], exec
	s_or_b64 s[16:17], s[20:21], s[16:17]
	s_andn2_b64 s[20:21], s[8:9], exec
	s_and_b64 s[10:11], s[10:11], exec
	s_xor_b64 s[12:13], exec, -1
	s_or_b64 s[10:11], s[20:21], s[10:11]
.LBB93_258:
	s_or_b64 exec, exec, s[0:1]
	s_and_b64 s[0:1], s[12:13], exec
	s_andn2_b64 s[4:5], s[4:5], exec
	s_and_b64 s[12:13], s[18:19], exec
	s_or_b64 s[4:5], s[4:5], s[12:13]
	s_andn2_b64 s[6:7], s[6:7], exec
	s_and_b64 s[12:13], s[16:17], exec
	s_andn2_b64 s[8:9], s[8:9], exec
	s_and_b64 s[10:11], s[10:11], exec
	s_or_b64 s[6:7], s[6:7], s[12:13]
	s_or_b64 s[8:9], s[8:9], s[10:11]
	v_mov_b32_e32 v12, v13
	v_mov_b32_e32 v11, v14
	s_or_b64 exec, exec, s[2:3]
	s_and_saveexec_b64 s[2:3], s[8:9]
	s_cbranch_execz .LBB93_193
.LBB93_259:
	v_mov_b32_e32 v2, 0
	s_andn2_b64 s[6:7], s[6:7], exec
	global_store_short v2, v10, s[14:15]
	s_or_b64 exec, exec, s[2:3]
	s_and_saveexec_b64 s[2:3], s[6:7]
	s_cbranch_execz .LBB93_194
.LBB93_260:
	v_mov_b32_e32 v2, 0
	global_store_short v2, v11, s[14:15]
	s_or_b64 exec, exec, s[2:3]
	s_and_saveexec_b64 s[2:3], s[4:5]
	s_xor_b64 s[2:3], exec, s[2:3]
	s_cbranch_execz .LBB93_195
.LBB93_261:
	v_mov_b32_e32 v2, 0
	global_store_short v2, v12, s[14:15]
	s_or_b64 exec, exec, s[2:3]
	s_and_b64 exec, exec, s[0:1]
	s_cbranch_execz .LBB93_196
.LBB93_262:
	v_cmp_lt_i64_e32 vcc, 2, v[0:1]
	s_and_saveexec_b64 s[0:1], vcc
	s_xor_b64 s[0:1], exec, s[0:1]
	s_cbranch_execz .LBB93_272
; %bb.263:
	v_cmp_lt_i64_e32 vcc, 3, v[0:1]
	s_and_saveexec_b64 s[2:3], vcc
	s_xor_b64 s[2:3], exec, s[2:3]
	s_cbranch_execz .LBB93_269
; %bb.264:
	;; [unrolled: 5-line block ×3, first 2 shown]
	v_mov_b32_e32 v0, 0
	global_store_short v0, v9, s[14:15]
                                        ; implicit-def: $vgpr6
.LBB93_266:
	s_andn2_saveexec_b64 s[4:5], s[4:5]
	s_cbranch_execz .LBB93_268
; %bb.267:
	v_mov_b32_e32 v0, 0
	global_store_short v0, v6, s[14:15]
.LBB93_268:
	s_or_b64 exec, exec, s[4:5]
                                        ; implicit-def: $vgpr8
.LBB93_269:
	s_andn2_saveexec_b64 s[2:3], s[2:3]
	s_cbranch_execz .LBB93_271
; %bb.270:
	v_mov_b32_e32 v0, 0
	global_store_short v0, v8, s[14:15]
.LBB93_271:
	s_or_b64 exec, exec, s[2:3]
                                        ; implicit-def: $vgpr0_vgpr1
                                        ; implicit-def: $vgpr7
                                        ; implicit-def: $vgpr4
                                        ; implicit-def: $vgpr5
.LBB93_272:
	s_andn2_saveexec_b64 s[0:1], s[0:1]
	s_cbranch_execz .LBB93_196
; %bb.273:
	v_cmp_lt_i64_e32 vcc, 1, v[0:1]
	s_and_saveexec_b64 s[0:1], vcc
	s_xor_b64 s[0:1], exec, s[0:1]
	s_cbranch_execz .LBB93_275
; %bb.274:
	v_mov_b32_e32 v0, 0
	global_store_short v0, v7, s[14:15]
                                        ; implicit-def: $vgpr4
                                        ; implicit-def: $vgpr0_vgpr1
                                        ; implicit-def: $vgpr5
.LBB93_275:
	s_andn2_saveexec_b64 s[0:1], s[0:1]
	s_cbranch_execz .LBB93_196
; %bb.276:
	v_cmp_ne_u64_e32 vcc, 1, v[0:1]
	s_and_saveexec_b64 s[0:1], vcc
	s_xor_b64 s[0:1], exec, s[0:1]
	s_cbranch_execz .LBB93_278
; %bb.277:
	v_mov_b32_e32 v0, 0
	global_store_short v0, v5, s[14:15]
                                        ; implicit-def: $vgpr4
.LBB93_278:
	s_andn2_saveexec_b64 s[0:1], s[0:1]
	s_cbranch_execz .LBB93_196
; %bb.279:
	v_mov_b32_e32 v0, 0
	global_store_short v0, v4, s[14:15]
	s_endpgm
	.section	.rodata,"a",@progbits
	.p2align	6, 0x0
	.amdhsa_kernel _ZN7rocprim17ROCPRIM_304000_NS6detail20lookback_scan_kernelILNS1_25lookback_scan_determinismE0ELb0ENS1_19wrapped_scan_configINS0_14default_configEN3c108BFloat16EEEPKS7_PS7_St10multipliesIS7_ES7_S7_NS1_19lookback_scan_stateIS7_Lb0ELb1EEEEEvT2_T3_mT5_T4_T7_jPT6_SM_bb
		.amdhsa_group_segment_fixed_size 12288
		.amdhsa_private_segment_fixed_size 0
		.amdhsa_kernarg_size 68
		.amdhsa_user_sgpr_count 6
		.amdhsa_user_sgpr_private_segment_buffer 1
		.amdhsa_user_sgpr_dispatch_ptr 0
		.amdhsa_user_sgpr_queue_ptr 0
		.amdhsa_user_sgpr_kernarg_segment_ptr 1
		.amdhsa_user_sgpr_dispatch_id 0
		.amdhsa_user_sgpr_flat_scratch_init 0
		.amdhsa_user_sgpr_private_segment_size 0
		.amdhsa_uses_dynamic_stack 0
		.amdhsa_system_sgpr_private_segment_wavefront_offset 0
		.amdhsa_system_sgpr_workgroup_id_x 1
		.amdhsa_system_sgpr_workgroup_id_y 0
		.amdhsa_system_sgpr_workgroup_id_z 0
		.amdhsa_system_sgpr_workgroup_info 0
		.amdhsa_system_vgpr_workitem_id 0
		.amdhsa_next_free_vgpr 67
		.amdhsa_next_free_sgpr 98
		.amdhsa_reserve_vcc 1
		.amdhsa_reserve_flat_scratch 0
		.amdhsa_float_round_mode_32 0
		.amdhsa_float_round_mode_16_64 0
		.amdhsa_float_denorm_mode_32 3
		.amdhsa_float_denorm_mode_16_64 3
		.amdhsa_dx10_clamp 1
		.amdhsa_ieee_mode 1
		.amdhsa_fp16_overflow 0
		.amdhsa_exception_fp_ieee_invalid_op 0
		.amdhsa_exception_fp_denorm_src 0
		.amdhsa_exception_fp_ieee_div_zero 0
		.amdhsa_exception_fp_ieee_overflow 0
		.amdhsa_exception_fp_ieee_underflow 0
		.amdhsa_exception_fp_ieee_inexact 0
		.amdhsa_exception_int_div_zero 0
	.end_amdhsa_kernel
	.section	.text._ZN7rocprim17ROCPRIM_304000_NS6detail20lookback_scan_kernelILNS1_25lookback_scan_determinismE0ELb0ENS1_19wrapped_scan_configINS0_14default_configEN3c108BFloat16EEEPKS7_PS7_St10multipliesIS7_ES7_S7_NS1_19lookback_scan_stateIS7_Lb0ELb1EEEEEvT2_T3_mT5_T4_T7_jPT6_SM_bb,"axG",@progbits,_ZN7rocprim17ROCPRIM_304000_NS6detail20lookback_scan_kernelILNS1_25lookback_scan_determinismE0ELb0ENS1_19wrapped_scan_configINS0_14default_configEN3c108BFloat16EEEPKS7_PS7_St10multipliesIS7_ES7_S7_NS1_19lookback_scan_stateIS7_Lb0ELb1EEEEEvT2_T3_mT5_T4_T7_jPT6_SM_bb,comdat
.Lfunc_end93:
	.size	_ZN7rocprim17ROCPRIM_304000_NS6detail20lookback_scan_kernelILNS1_25lookback_scan_determinismE0ELb0ENS1_19wrapped_scan_configINS0_14default_configEN3c108BFloat16EEEPKS7_PS7_St10multipliesIS7_ES7_S7_NS1_19lookback_scan_stateIS7_Lb0ELb1EEEEEvT2_T3_mT5_T4_T7_jPT6_SM_bb, .Lfunc_end93-_ZN7rocprim17ROCPRIM_304000_NS6detail20lookback_scan_kernelILNS1_25lookback_scan_determinismE0ELb0ENS1_19wrapped_scan_configINS0_14default_configEN3c108BFloat16EEEPKS7_PS7_St10multipliesIS7_ES7_S7_NS1_19lookback_scan_stateIS7_Lb0ELb1EEEEEvT2_T3_mT5_T4_T7_jPT6_SM_bb
                                        ; -- End function
	.set _ZN7rocprim17ROCPRIM_304000_NS6detail20lookback_scan_kernelILNS1_25lookback_scan_determinismE0ELb0ENS1_19wrapped_scan_configINS0_14default_configEN3c108BFloat16EEEPKS7_PS7_St10multipliesIS7_ES7_S7_NS1_19lookback_scan_stateIS7_Lb0ELb1EEEEEvT2_T3_mT5_T4_T7_jPT6_SM_bb.num_vgpr, 67
	.set _ZN7rocprim17ROCPRIM_304000_NS6detail20lookback_scan_kernelILNS1_25lookback_scan_determinismE0ELb0ENS1_19wrapped_scan_configINS0_14default_configEN3c108BFloat16EEEPKS7_PS7_St10multipliesIS7_ES7_S7_NS1_19lookback_scan_stateIS7_Lb0ELb1EEEEEvT2_T3_mT5_T4_T7_jPT6_SM_bb.num_agpr, 0
	.set _ZN7rocprim17ROCPRIM_304000_NS6detail20lookback_scan_kernelILNS1_25lookback_scan_determinismE0ELb0ENS1_19wrapped_scan_configINS0_14default_configEN3c108BFloat16EEEPKS7_PS7_St10multipliesIS7_ES7_S7_NS1_19lookback_scan_stateIS7_Lb0ELb1EEEEEvT2_T3_mT5_T4_T7_jPT6_SM_bb.numbered_sgpr, 28
	.set _ZN7rocprim17ROCPRIM_304000_NS6detail20lookback_scan_kernelILNS1_25lookback_scan_determinismE0ELb0ENS1_19wrapped_scan_configINS0_14default_configEN3c108BFloat16EEEPKS7_PS7_St10multipliesIS7_ES7_S7_NS1_19lookback_scan_stateIS7_Lb0ELb1EEEEEvT2_T3_mT5_T4_T7_jPT6_SM_bb.num_named_barrier, 0
	.set _ZN7rocprim17ROCPRIM_304000_NS6detail20lookback_scan_kernelILNS1_25lookback_scan_determinismE0ELb0ENS1_19wrapped_scan_configINS0_14default_configEN3c108BFloat16EEEPKS7_PS7_St10multipliesIS7_ES7_S7_NS1_19lookback_scan_stateIS7_Lb0ELb1EEEEEvT2_T3_mT5_T4_T7_jPT6_SM_bb.private_seg_size, 0
	.set _ZN7rocprim17ROCPRIM_304000_NS6detail20lookback_scan_kernelILNS1_25lookback_scan_determinismE0ELb0ENS1_19wrapped_scan_configINS0_14default_configEN3c108BFloat16EEEPKS7_PS7_St10multipliesIS7_ES7_S7_NS1_19lookback_scan_stateIS7_Lb0ELb1EEEEEvT2_T3_mT5_T4_T7_jPT6_SM_bb.uses_vcc, 1
	.set _ZN7rocprim17ROCPRIM_304000_NS6detail20lookback_scan_kernelILNS1_25lookback_scan_determinismE0ELb0ENS1_19wrapped_scan_configINS0_14default_configEN3c108BFloat16EEEPKS7_PS7_St10multipliesIS7_ES7_S7_NS1_19lookback_scan_stateIS7_Lb0ELb1EEEEEvT2_T3_mT5_T4_T7_jPT6_SM_bb.uses_flat_scratch, 0
	.set _ZN7rocprim17ROCPRIM_304000_NS6detail20lookback_scan_kernelILNS1_25lookback_scan_determinismE0ELb0ENS1_19wrapped_scan_configINS0_14default_configEN3c108BFloat16EEEPKS7_PS7_St10multipliesIS7_ES7_S7_NS1_19lookback_scan_stateIS7_Lb0ELb1EEEEEvT2_T3_mT5_T4_T7_jPT6_SM_bb.has_dyn_sized_stack, 0
	.set _ZN7rocprim17ROCPRIM_304000_NS6detail20lookback_scan_kernelILNS1_25lookback_scan_determinismE0ELb0ENS1_19wrapped_scan_configINS0_14default_configEN3c108BFloat16EEEPKS7_PS7_St10multipliesIS7_ES7_S7_NS1_19lookback_scan_stateIS7_Lb0ELb1EEEEEvT2_T3_mT5_T4_T7_jPT6_SM_bb.has_recursion, 0
	.set _ZN7rocprim17ROCPRIM_304000_NS6detail20lookback_scan_kernelILNS1_25lookback_scan_determinismE0ELb0ENS1_19wrapped_scan_configINS0_14default_configEN3c108BFloat16EEEPKS7_PS7_St10multipliesIS7_ES7_S7_NS1_19lookback_scan_stateIS7_Lb0ELb1EEEEEvT2_T3_mT5_T4_T7_jPT6_SM_bb.has_indirect_call, 0
	.section	.AMDGPU.csdata,"",@progbits
; Kernel info:
; codeLenInByte = 13460
; TotalNumSgprs: 32
; NumVgprs: 67
; ScratchSize: 0
; MemoryBound: 0
; FloatMode: 240
; IeeeMode: 1
; LDSByteSize: 12288 bytes/workgroup (compile time only)
; SGPRBlocks: 12
; VGPRBlocks: 16
; NumSGPRsForWavesPerEU: 102
; NumVGPRsForWavesPerEU: 67
; Occupancy: 3
; WaveLimiterHint : 1
; COMPUTE_PGM_RSRC2:SCRATCH_EN: 0
; COMPUTE_PGM_RSRC2:USER_SGPR: 6
; COMPUTE_PGM_RSRC2:TRAP_HANDLER: 0
; COMPUTE_PGM_RSRC2:TGID_X_EN: 1
; COMPUTE_PGM_RSRC2:TGID_Y_EN: 0
; COMPUTE_PGM_RSRC2:TGID_Z_EN: 0
; COMPUTE_PGM_RSRC2:TIDIG_COMP_CNT: 0
	.section	.text._ZN7rocprim17ROCPRIM_304000_NS6detail16transform_kernelINS1_24wrapped_transform_configINS0_14default_configEN3c108BFloat16EEES6_PS6_S8_NS0_8identityIS6_EEEEvT1_mT2_T3_,"axG",@progbits,_ZN7rocprim17ROCPRIM_304000_NS6detail16transform_kernelINS1_24wrapped_transform_configINS0_14default_configEN3c108BFloat16EEES6_PS6_S8_NS0_8identityIS6_EEEEvT1_mT2_T3_,comdat
	.protected	_ZN7rocprim17ROCPRIM_304000_NS6detail16transform_kernelINS1_24wrapped_transform_configINS0_14default_configEN3c108BFloat16EEES6_PS6_S8_NS0_8identityIS6_EEEEvT1_mT2_T3_ ; -- Begin function _ZN7rocprim17ROCPRIM_304000_NS6detail16transform_kernelINS1_24wrapped_transform_configINS0_14default_configEN3c108BFloat16EEES6_PS6_S8_NS0_8identityIS6_EEEEvT1_mT2_T3_
	.globl	_ZN7rocprim17ROCPRIM_304000_NS6detail16transform_kernelINS1_24wrapped_transform_configINS0_14default_configEN3c108BFloat16EEES6_PS6_S8_NS0_8identityIS6_EEEEvT1_mT2_T3_
	.p2align	8
	.type	_ZN7rocprim17ROCPRIM_304000_NS6detail16transform_kernelINS1_24wrapped_transform_configINS0_14default_configEN3c108BFloat16EEES6_PS6_S8_NS0_8identityIS6_EEEEvT1_mT2_T3_,@function
_ZN7rocprim17ROCPRIM_304000_NS6detail16transform_kernelINS1_24wrapped_transform_configINS0_14default_configEN3c108BFloat16EEES6_PS6_S8_NS0_8identityIS6_EEEEvT1_mT2_T3_: ; @_ZN7rocprim17ROCPRIM_304000_NS6detail16transform_kernelINS1_24wrapped_transform_configINS0_14default_configEN3c108BFloat16EEES6_PS6_S8_NS0_8identityIS6_EEEEvT1_mT2_T3_
; %bb.0:
	s_load_dword s7, s[4:5], 0x20
	s_load_dwordx4 s[0:3], s[4:5], 0x0
	s_load_dwordx2 s[8:9], s[4:5], 0x10
	s_lshl_b32 s4, s6, 11
	s_mov_b32 s5, 0
	s_waitcnt lgkmcnt(0)
	s_add_i32 s7, s7, -1
	s_lshl_b64 s[10:11], s[4:5], 1
	s_add_u32 s0, s0, s10
	s_addc_u32 s1, s1, s11
	v_lshlrev_b32_e32 v3, 1, v0
	v_mov_b32_e32 v2, s1
	v_add_co_u32_e32 v1, vcc, s0, v3
	s_cmp_lg_u32 s6, s7
	v_addc_co_u32_e32 v2, vcc, 0, v2, vcc
	s_cbranch_scc0 .LBB94_2
; %bb.1:
	global_load_ushort v5, v[1:2], off
	global_load_ushort v6, v[1:2], off offset:1024
	global_load_ushort v7, v[1:2], off offset:2048
	;; [unrolled: 1-line block ×3, first 2 shown]
	s_add_u32 s6, s8, s10
	s_addc_u32 s7, s9, s11
	s_waitcnt vmcnt(3)
	global_store_short v3, v5, s[6:7]
	s_waitcnt vmcnt(3)
	global_store_short v3, v6, s[6:7] offset:1024
	s_waitcnt vmcnt(3)
	global_store_short v3, v7, s[6:7] offset:2048
	s_mov_b64 s[6:7], -1
	s_cbranch_execz .LBB94_3
	s_branch .LBB94_16
.LBB94_2:
	s_mov_b64 s[6:7], 0
                                        ; implicit-def: $vgpr4
.LBB94_3:
	s_sub_i32 s6, s2, s4
	v_cmp_gt_u32_e32 vcc, s6, v0
                                        ; implicit-def: $vgpr5
	s_and_saveexec_b64 s[0:1], vcc
	s_cbranch_execz .LBB94_5
; %bb.4:
	global_load_ushort v5, v[1:2], off
.LBB94_5:
	s_or_b64 exec, exec, s[0:1]
	s_waitcnt vmcnt(3)
	v_or_b32_e32 v4, 0x200, v0
	v_cmp_gt_u32_e64 s[0:1], s6, v4
                                        ; implicit-def: $vgpr6
	s_and_saveexec_b64 s[2:3], s[0:1]
	s_cbranch_execz .LBB94_7
; %bb.6:
	global_load_ushort v6, v[1:2], off offset:1024
.LBB94_7:
	s_or_b64 exec, exec, s[2:3]
	v_or_b32_e32 v4, 0x400, v0
	v_cmp_gt_u32_e64 s[2:3], s6, v4
                                        ; implicit-def: $vgpr7
	s_and_saveexec_b64 s[4:5], s[2:3]
	s_cbranch_execz .LBB94_9
; %bb.8:
	global_load_ushort v7, v[1:2], off offset:2048
.LBB94_9:
	s_or_b64 exec, exec, s[4:5]
	v_or_b32_e32 v0, 0x600, v0
	v_cmp_gt_u32_e64 s[6:7], s6, v0
                                        ; implicit-def: $vgpr4
	s_and_saveexec_b64 s[4:5], s[6:7]
	s_cbranch_execz .LBB94_11
; %bb.10:
	global_load_ushort v4, v[1:2], off offset:3072
.LBB94_11:
	s_or_b64 exec, exec, s[4:5]
	s_add_u32 s4, s8, s10
	s_addc_u32 s5, s9, s11
	v_mov_b32_e32 v1, s5
	v_add_co_u32_e64 v0, s[4:5], s4, v3
	v_addc_co_u32_e64 v1, s[4:5], 0, v1, s[4:5]
	s_and_saveexec_b64 s[4:5], vcc
	s_cbranch_execnz .LBB94_19
; %bb.12:
	s_or_b64 exec, exec, s[4:5]
	s_and_saveexec_b64 s[4:5], s[0:1]
	s_cbranch_execnz .LBB94_20
.LBB94_13:
	s_or_b64 exec, exec, s[4:5]
	s_and_saveexec_b64 s[0:1], s[2:3]
	s_cbranch_execz .LBB94_15
.LBB94_14:
	s_waitcnt vmcnt(0)
	global_store_short v[0:1], v7, off offset:2048
.LBB94_15:
	s_or_b64 exec, exec, s[0:1]
.LBB94_16:
	s_and_saveexec_b64 s[0:1], s[6:7]
	s_cbranch_execnz .LBB94_18
; %bb.17:
	s_endpgm
.LBB94_18:
	s_add_u32 s0, s8, s10
	s_addc_u32 s1, s9, s11
	s_waitcnt vmcnt(0)
	global_store_short v3, v4, s[0:1] offset:3072
	s_endpgm
.LBB94_19:
	s_waitcnt vmcnt(0)
	global_store_short v[0:1], v5, off
	s_or_b64 exec, exec, s[4:5]
	s_and_saveexec_b64 s[4:5], s[0:1]
	s_cbranch_execz .LBB94_13
.LBB94_20:
	s_waitcnt vmcnt(0)
	global_store_short v[0:1], v6, off offset:1024
	s_or_b64 exec, exec, s[4:5]
	s_and_saveexec_b64 s[0:1], s[2:3]
	s_cbranch_execnz .LBB94_14
	s_branch .LBB94_15
	.section	.rodata,"a",@progbits
	.p2align	6, 0x0
	.amdhsa_kernel _ZN7rocprim17ROCPRIM_304000_NS6detail16transform_kernelINS1_24wrapped_transform_configINS0_14default_configEN3c108BFloat16EEES6_PS6_S8_NS0_8identityIS6_EEEEvT1_mT2_T3_
		.amdhsa_group_segment_fixed_size 0
		.amdhsa_private_segment_fixed_size 0
		.amdhsa_kernarg_size 288
		.amdhsa_user_sgpr_count 6
		.amdhsa_user_sgpr_private_segment_buffer 1
		.amdhsa_user_sgpr_dispatch_ptr 0
		.amdhsa_user_sgpr_queue_ptr 0
		.amdhsa_user_sgpr_kernarg_segment_ptr 1
		.amdhsa_user_sgpr_dispatch_id 0
		.amdhsa_user_sgpr_flat_scratch_init 0
		.amdhsa_user_sgpr_private_segment_size 0
		.amdhsa_uses_dynamic_stack 0
		.amdhsa_system_sgpr_private_segment_wavefront_offset 0
		.amdhsa_system_sgpr_workgroup_id_x 1
		.amdhsa_system_sgpr_workgroup_id_y 0
		.amdhsa_system_sgpr_workgroup_id_z 0
		.amdhsa_system_sgpr_workgroup_info 0
		.amdhsa_system_vgpr_workitem_id 0
		.amdhsa_next_free_vgpr 8
		.amdhsa_next_free_sgpr 12
		.amdhsa_reserve_vcc 1
		.amdhsa_reserve_flat_scratch 0
		.amdhsa_float_round_mode_32 0
		.amdhsa_float_round_mode_16_64 0
		.amdhsa_float_denorm_mode_32 3
		.amdhsa_float_denorm_mode_16_64 3
		.amdhsa_dx10_clamp 1
		.amdhsa_ieee_mode 1
		.amdhsa_fp16_overflow 0
		.amdhsa_exception_fp_ieee_invalid_op 0
		.amdhsa_exception_fp_denorm_src 0
		.amdhsa_exception_fp_ieee_div_zero 0
		.amdhsa_exception_fp_ieee_overflow 0
		.amdhsa_exception_fp_ieee_underflow 0
		.amdhsa_exception_fp_ieee_inexact 0
		.amdhsa_exception_int_div_zero 0
	.end_amdhsa_kernel
	.section	.text._ZN7rocprim17ROCPRIM_304000_NS6detail16transform_kernelINS1_24wrapped_transform_configINS0_14default_configEN3c108BFloat16EEES6_PS6_S8_NS0_8identityIS6_EEEEvT1_mT2_T3_,"axG",@progbits,_ZN7rocprim17ROCPRIM_304000_NS6detail16transform_kernelINS1_24wrapped_transform_configINS0_14default_configEN3c108BFloat16EEES6_PS6_S8_NS0_8identityIS6_EEEEvT1_mT2_T3_,comdat
.Lfunc_end94:
	.size	_ZN7rocprim17ROCPRIM_304000_NS6detail16transform_kernelINS1_24wrapped_transform_configINS0_14default_configEN3c108BFloat16EEES6_PS6_S8_NS0_8identityIS6_EEEEvT1_mT2_T3_, .Lfunc_end94-_ZN7rocprim17ROCPRIM_304000_NS6detail16transform_kernelINS1_24wrapped_transform_configINS0_14default_configEN3c108BFloat16EEES6_PS6_S8_NS0_8identityIS6_EEEEvT1_mT2_T3_
                                        ; -- End function
	.set _ZN7rocprim17ROCPRIM_304000_NS6detail16transform_kernelINS1_24wrapped_transform_configINS0_14default_configEN3c108BFloat16EEES6_PS6_S8_NS0_8identityIS6_EEEEvT1_mT2_T3_.num_vgpr, 8
	.set _ZN7rocprim17ROCPRIM_304000_NS6detail16transform_kernelINS1_24wrapped_transform_configINS0_14default_configEN3c108BFloat16EEES6_PS6_S8_NS0_8identityIS6_EEEEvT1_mT2_T3_.num_agpr, 0
	.set _ZN7rocprim17ROCPRIM_304000_NS6detail16transform_kernelINS1_24wrapped_transform_configINS0_14default_configEN3c108BFloat16EEES6_PS6_S8_NS0_8identityIS6_EEEEvT1_mT2_T3_.numbered_sgpr, 12
	.set _ZN7rocprim17ROCPRIM_304000_NS6detail16transform_kernelINS1_24wrapped_transform_configINS0_14default_configEN3c108BFloat16EEES6_PS6_S8_NS0_8identityIS6_EEEEvT1_mT2_T3_.num_named_barrier, 0
	.set _ZN7rocprim17ROCPRIM_304000_NS6detail16transform_kernelINS1_24wrapped_transform_configINS0_14default_configEN3c108BFloat16EEES6_PS6_S8_NS0_8identityIS6_EEEEvT1_mT2_T3_.private_seg_size, 0
	.set _ZN7rocprim17ROCPRIM_304000_NS6detail16transform_kernelINS1_24wrapped_transform_configINS0_14default_configEN3c108BFloat16EEES6_PS6_S8_NS0_8identityIS6_EEEEvT1_mT2_T3_.uses_vcc, 1
	.set _ZN7rocprim17ROCPRIM_304000_NS6detail16transform_kernelINS1_24wrapped_transform_configINS0_14default_configEN3c108BFloat16EEES6_PS6_S8_NS0_8identityIS6_EEEEvT1_mT2_T3_.uses_flat_scratch, 0
	.set _ZN7rocprim17ROCPRIM_304000_NS6detail16transform_kernelINS1_24wrapped_transform_configINS0_14default_configEN3c108BFloat16EEES6_PS6_S8_NS0_8identityIS6_EEEEvT1_mT2_T3_.has_dyn_sized_stack, 0
	.set _ZN7rocprim17ROCPRIM_304000_NS6detail16transform_kernelINS1_24wrapped_transform_configINS0_14default_configEN3c108BFloat16EEES6_PS6_S8_NS0_8identityIS6_EEEEvT1_mT2_T3_.has_recursion, 0
	.set _ZN7rocprim17ROCPRIM_304000_NS6detail16transform_kernelINS1_24wrapped_transform_configINS0_14default_configEN3c108BFloat16EEES6_PS6_S8_NS0_8identityIS6_EEEEvT1_mT2_T3_.has_indirect_call, 0
	.section	.AMDGPU.csdata,"",@progbits
; Kernel info:
; codeLenInByte = 472
; TotalNumSgprs: 16
; NumVgprs: 8
; ScratchSize: 0
; MemoryBound: 0
; FloatMode: 240
; IeeeMode: 1
; LDSByteSize: 0 bytes/workgroup (compile time only)
; SGPRBlocks: 1
; VGPRBlocks: 1
; NumSGPRsForWavesPerEU: 16
; NumVGPRsForWavesPerEU: 8
; Occupancy: 10
; WaveLimiterHint : 1
; COMPUTE_PGM_RSRC2:SCRATCH_EN: 0
; COMPUTE_PGM_RSRC2:USER_SGPR: 6
; COMPUTE_PGM_RSRC2:TRAP_HANDLER: 0
; COMPUTE_PGM_RSRC2:TGID_X_EN: 1
; COMPUTE_PGM_RSRC2:TGID_Y_EN: 0
; COMPUTE_PGM_RSRC2:TGID_Z_EN: 0
; COMPUTE_PGM_RSRC2:TIDIG_COMP_CNT: 0
	.section	.text._ZN7rocprim17ROCPRIM_304000_NS6detail18single_scan_kernelILb0ENS1_19wrapped_scan_configINS0_14default_configEN3c108BFloat16EEEPKS6_PS6_St10multipliesIS6_ES6_S6_EEvT1_mT4_T2_T3_,"axG",@progbits,_ZN7rocprim17ROCPRIM_304000_NS6detail18single_scan_kernelILb0ENS1_19wrapped_scan_configINS0_14default_configEN3c108BFloat16EEEPKS6_PS6_St10multipliesIS6_ES6_S6_EEvT1_mT4_T2_T3_,comdat
	.protected	_ZN7rocprim17ROCPRIM_304000_NS6detail18single_scan_kernelILb0ENS1_19wrapped_scan_configINS0_14default_configEN3c108BFloat16EEEPKS6_PS6_St10multipliesIS6_ES6_S6_EEvT1_mT4_T2_T3_ ; -- Begin function _ZN7rocprim17ROCPRIM_304000_NS6detail18single_scan_kernelILb0ENS1_19wrapped_scan_configINS0_14default_configEN3c108BFloat16EEEPKS6_PS6_St10multipliesIS6_ES6_S6_EEvT1_mT4_T2_T3_
	.globl	_ZN7rocprim17ROCPRIM_304000_NS6detail18single_scan_kernelILb0ENS1_19wrapped_scan_configINS0_14default_configEN3c108BFloat16EEEPKS6_PS6_St10multipliesIS6_ES6_S6_EEvT1_mT4_T2_T3_
	.p2align	8
	.type	_ZN7rocprim17ROCPRIM_304000_NS6detail18single_scan_kernelILb0ENS1_19wrapped_scan_configINS0_14default_configEN3c108BFloat16EEEPKS6_PS6_St10multipliesIS6_ES6_S6_EEvT1_mT4_T2_T3_,@function
_ZN7rocprim17ROCPRIM_304000_NS6detail18single_scan_kernelILb0ENS1_19wrapped_scan_configINS0_14default_configEN3c108BFloat16EEEPKS6_PS6_St10multipliesIS6_ES6_S6_EEvT1_mT4_T2_T3_: ; @_ZN7rocprim17ROCPRIM_304000_NS6detail18single_scan_kernelILb0ENS1_19wrapped_scan_configINS0_14default_configEN3c108BFloat16EEEPKS6_PS6_St10multipliesIS6_ES6_S6_EEvT1_mT4_T2_T3_
; %bb.0:
	s_load_dwordx4 s[52:55], s[4:5], 0x0
	v_mov_b32_e32 v1, 0
	v_lshlrev_b32_e32 v5, 1, v0
	s_waitcnt lgkmcnt(0)
	global_load_ushort v3, v1, s[52:53]
	v_mov_b32_e32 v2, s53
	v_add_co_u32_e32 v1, vcc, s52, v5
	v_addc_co_u32_e32 v2, vcc, 0, v2, vcc
	v_cmp_gt_u32_e64 s[0:1], s54, v0
	s_waitcnt vmcnt(0)
	v_mov_b32_e32 v4, v3
	s_and_saveexec_b64 s[2:3], s[0:1]
	s_cbranch_execz .LBB95_2
; %bb.1:
	global_load_ushort v4, v[1:2], off
.LBB95_2:
	s_or_b64 exec, exec, s[2:3]
	v_or_b32_e32 v6, 0x100, v0
	v_cmp_gt_u32_e64 s[2:3], s54, v6
	v_mov_b32_e32 v6, v3
	s_and_saveexec_b64 s[6:7], s[2:3]
	s_cbranch_execz .LBB95_4
; %bb.3:
	global_load_ushort v6, v[1:2], off offset:512
.LBB95_4:
	s_or_b64 exec, exec, s[6:7]
	v_or_b32_e32 v7, 0x200, v0
	v_cmp_gt_u32_e64 s[50:51], s54, v7
	v_mov_b32_e32 v7, v3
	s_and_saveexec_b64 s[6:7], s[50:51]
	s_cbranch_execz .LBB95_6
; %bb.5:
	global_load_ushort v7, v[1:2], off offset:1024
.LBB95_6:
	;; [unrolled: 9-line block ×7, first 2 shown]
	s_or_b64 exec, exec, s[16:17]
	v_or_b32_e32 v13, 0x800, v0
	v_cmp_gt_u32_e64 s[16:17], s54, v13
	v_mov_b32_e32 v13, v3
	s_and_saveexec_b64 s[18:19], s[16:17]
	s_cbranch_execz .LBB95_18
; %bb.17:
	v_add_co_u32_e32 v13, vcc, 0x1000, v1
	v_addc_co_u32_e32 v14, vcc, 0, v2, vcc
	global_load_ushort v13, v[13:14], off
.LBB95_18:
	s_or_b64 exec, exec, s[18:19]
	v_or_b32_e32 v14, 0x900, v0
	v_cmp_gt_u32_e64 s[18:19], s54, v14
	v_mov_b32_e32 v14, v3
	s_and_saveexec_b64 s[20:21], s[18:19]
	s_cbranch_execz .LBB95_20
; %bb.19:
	v_add_co_u32_e32 v14, vcc, 0x1000, v1
	v_addc_co_u32_e32 v15, vcc, 0, v2, vcc
	global_load_ushort v14, v[14:15], off offset:512
.LBB95_20:
	s_or_b64 exec, exec, s[20:21]
	v_or_b32_e32 v15, 0xa00, v0
	v_cmp_gt_u32_e64 s[20:21], s54, v15
	v_mov_b32_e32 v15, v3
	s_and_saveexec_b64 s[22:23], s[20:21]
	s_cbranch_execz .LBB95_22
; %bb.21:
	v_add_co_u32_e32 v15, vcc, 0x1000, v1
	v_addc_co_u32_e32 v16, vcc, 0, v2, vcc
	global_load_ushort v15, v[15:16], off offset:1024
.LBB95_22:
	;; [unrolled: 11-line block ×7, first 2 shown]
	s_or_b64 exec, exec, s[34:35]
	v_or_b32_e32 v21, 0x1000, v0
	v_cmp_gt_u32_e64 s[34:35], s54, v21
	v_mov_b32_e32 v21, v3
	s_and_saveexec_b64 s[36:37], s[34:35]
	s_cbranch_execz .LBB95_34
; %bb.33:
	v_add_co_u32_e32 v21, vcc, 0x2000, v1
	v_addc_co_u32_e32 v22, vcc, 0, v2, vcc
	global_load_ushort v21, v[21:22], off
.LBB95_34:
	s_or_b64 exec, exec, s[36:37]
	v_or_b32_e32 v22, 0x1100, v0
	v_cmp_gt_u32_e64 s[36:37], s54, v22
	v_mov_b32_e32 v22, v3
	s_and_saveexec_b64 s[38:39], s[36:37]
	s_cbranch_execz .LBB95_36
; %bb.35:
	v_add_co_u32_e32 v22, vcc, 0x2000, v1
	v_addc_co_u32_e32 v23, vcc, 0, v2, vcc
	global_load_ushort v22, v[22:23], off offset:512
.LBB95_36:
	s_or_b64 exec, exec, s[38:39]
	v_or_b32_e32 v23, 0x1200, v0
	v_cmp_gt_u32_e64 s[38:39], s54, v23
	v_mov_b32_e32 v23, v3
	s_and_saveexec_b64 s[40:41], s[38:39]
	s_cbranch_execz .LBB95_38
; %bb.37:
	v_add_co_u32_e32 v23, vcc, 0x2000, v1
	v_addc_co_u32_e32 v24, vcc, 0, v2, vcc
	global_load_ushort v23, v[23:24], off offset:1024
.LBB95_38:
	;; [unrolled: 11-line block ×6, first 2 shown]
	s_or_b64 exec, exec, s[48:49]
	v_or_b32_e32 v28, 0x1700, v0
	v_cmp_gt_u32_e64 s[48:49], s54, v28
	s_and_saveexec_b64 s[52:53], s[48:49]
	s_cbranch_execz .LBB95_48
; %bb.47:
	v_add_co_u32_e32 v1, vcc, 0x2000, v1
	v_addc_co_u32_e32 v2, vcc, 0, v2, vcc
	global_load_ushort v3, v[1:2], off offset:3584
.LBB95_48:
	s_or_b64 exec, exec, s[52:53]
	s_waitcnt vmcnt(0)
	ds_write_b16 v5, v4
	ds_write_b16 v5, v6 offset:512
	ds_write_b16 v5, v7 offset:1024
	;; [unrolled: 1-line block ×23, first 2 shown]
	v_mad_u32_u24 v6, v0, 46, v5
	s_waitcnt lgkmcnt(0)
	s_barrier
	ds_read_b128 v[1:4], v6
	ds_read_b128 v[12:15], v6 offset:16
	ds_read_b128 v[20:23], v6 offset:32
	s_movk_i32 s33, 0x7fff
	v_mov_b32_e32 v33, 0x7fc00000
	s_waitcnt lgkmcnt(2)
	v_and_b32_e32 v25, 0xffff0000, v1
	v_lshlrev_b32_e32 v26, 16, v1
	v_mul_f32_e32 v27, v26, v25
	v_bfe_u32 v6, v27, 16, 1
	v_add3_u32 v28, v27, v6, s33
	v_and_b32_e32 v6, 0xffff0000, v28
	v_cmp_o_f32_e32 vcc, v27, v27
	v_cndmask_b32_e32 v6, v33, v6, vcc
	v_lshlrev_b32_e32 v24, 16, v2
	v_mul_f32_e32 v6, v6, v24
	v_bfe_u32 v7, v6, 16, 1
	v_add3_u32 v7, v6, v7, s33
	v_and_b32_e32 v7, 0xffff0000, v7
	v_cmp_o_f32_e32 vcc, v6, v6
	v_cndmask_b32_e32 v6, v33, v7, vcc
	v_and_b32_e32 v2, 0xffff0000, v2
	v_mul_f32_e32 v6, v6, v2
	v_bfe_u32 v7, v6, 16, 1
	v_add3_u32 v7, v6, v7, s33
	v_and_b32_e32 v7, 0xffff0000, v7
	v_cmp_o_f32_e32 vcc, v6, v6
	v_cndmask_b32_e32 v7, v33, v7, vcc
	v_lshlrev_b32_e32 v6, 16, v3
	v_mul_f32_e32 v7, v7, v6
	v_bfe_u32 v8, v7, 16, 1
	v_add3_u32 v8, v7, v8, s33
	v_and_b32_e32 v8, 0xffff0000, v8
	v_cmp_o_f32_e32 vcc, v7, v7
	v_cndmask_b32_e32 v7, v33, v8, vcc
	v_and_b32_e32 v3, 0xffff0000, v3
	;; [unrolled: 14-line block ×3, first 2 shown]
	v_mul_f32_e32 v8, v8, v4
	v_bfe_u32 v9, v8, 16, 1
	v_add3_u32 v9, v8, v9, s33
	v_and_b32_e32 v9, 0xffff0000, v9
	v_cmp_o_f32_e32 vcc, v8, v8
	v_cndmask_b32_e32 v9, v33, v9, vcc
	s_waitcnt lgkmcnt(1)
	v_lshlrev_b32_e32 v8, 16, v12
	v_mul_f32_e32 v9, v9, v8
	v_bfe_u32 v10, v9, 16, 1
	v_add3_u32 v10, v9, v10, s33
	v_and_b32_e32 v10, 0xffff0000, v10
	v_cmp_o_f32_e32 vcc, v9, v9
	v_cndmask_b32_e32 v10, v33, v10, vcc
	v_and_b32_e32 v9, 0xffff0000, v12
	v_mul_f32_e32 v10, v10, v9
	v_bfe_u32 v11, v10, 16, 1
	v_add3_u32 v11, v10, v11, s33
	v_and_b32_e32 v11, 0xffff0000, v11
	v_cmp_o_f32_e32 vcc, v10, v10
	v_cndmask_b32_e32 v11, v33, v11, vcc
	v_lshlrev_b32_e32 v10, 16, v13
	v_mul_f32_e32 v11, v11, v10
	v_bfe_u32 v12, v11, 16, 1
	v_add3_u32 v12, v11, v12, s33
	v_and_b32_e32 v12, 0xffff0000, v12
	v_cmp_o_f32_e32 vcc, v11, v11
	v_cndmask_b32_e32 v12, v33, v12, vcc
	v_and_b32_e32 v11, 0xffff0000, v13
	v_mul_f32_e32 v12, v12, v11
	v_bfe_u32 v13, v12, 16, 1
	v_add3_u32 v13, v12, v13, s33
	v_and_b32_e32 v13, 0xffff0000, v13
	v_cmp_o_f32_e32 vcc, v12, v12
	v_cndmask_b32_e32 v13, v33, v13, vcc
	;; [unrolled: 14-line block ×4, first 2 shown]
	s_waitcnt lgkmcnt(0)
	v_lshlrev_b32_e32 v16, 16, v20
	v_mul_f32_e32 v17, v17, v16
	v_bfe_u32 v18, v17, 16, 1
	v_add3_u32 v18, v17, v18, s33
	v_and_b32_e32 v18, 0xffff0000, v18
	v_cmp_o_f32_e32 vcc, v17, v17
	v_cndmask_b32_e32 v18, v33, v18, vcc
	v_and_b32_e32 v17, 0xffff0000, v20
	v_mul_f32_e32 v18, v18, v17
	v_bfe_u32 v19, v18, 16, 1
	v_add3_u32 v19, v18, v19, s33
	v_and_b32_e32 v19, 0xffff0000, v19
	v_cmp_o_f32_e32 vcc, v18, v18
	v_cndmask_b32_e32 v19, v33, v19, vcc
	v_lshlrev_b32_e32 v18, 16, v21
	v_mul_f32_e32 v19, v19, v18
	v_bfe_u32 v20, v19, 16, 1
	v_add3_u32 v20, v19, v20, s33
	v_and_b32_e32 v20, 0xffff0000, v20
	v_cmp_o_f32_e32 vcc, v19, v19
	v_cndmask_b32_e32 v20, v33, v20, vcc
	v_and_b32_e32 v19, 0xffff0000, v21
	v_mul_f32_e32 v20, v20, v19
	v_bfe_u32 v21, v20, 16, 1
	v_add3_u32 v21, v20, v21, s33
	v_and_b32_e32 v21, 0xffff0000, v21
	v_cmp_o_f32_e32 vcc, v20, v20
	v_cndmask_b32_e32 v21, v33, v21, vcc
	v_lshlrev_b32_e32 v20, 16, v22
	v_mul_f32_e32 v21, v21, v20
	v_bfe_u32 v29, v21, 16, 1
	v_add3_u32 v29, v21, v29, s33
	v_and_b32_e32 v29, 0xffff0000, v29
	v_cmp_o_f32_e32 vcc, v21, v21
	v_cndmask_b32_e32 v29, v33, v29, vcc
	v_and_b32_e32 v21, 0xffff0000, v22
	v_mul_f32_e32 v22, v29, v21
	v_bfe_u32 v29, v22, 16, 1
	v_add3_u32 v29, v22, v29, s33
	v_and_b32_e32 v29, 0xffff0000, v29
	v_cmp_o_f32_e32 vcc, v22, v22
	v_cndmask_b32_e32 v29, v33, v29, vcc
	v_lshlrev_b32_e32 v22, 16, v23
	v_mul_f32_e32 v29, v29, v22
	v_bfe_u32 v30, v29, 16, 1
	v_add3_u32 v30, v29, v30, s33
	v_and_b32_e32 v30, 0xffff0000, v30
	v_cmp_o_f32_e32 vcc, v29, v29
	v_cndmask_b32_e32 v29, v33, v30, vcc
	v_and_b32_e32 v23, 0xffff0000, v23
	v_mul_f32_e32 v29, v29, v23
	v_bfe_u32 v30, v29, 16, 1
	v_add3_u32 v30, v29, v30, s33
	v_cmp_o_f32_e32 vcc, v29, v29
	v_lshrrev_b32_e32 v29, 4, v0
	v_lshrrev_b32_e32 v30, 16, v30
	v_mov_b32_e32 v35, 0x7fc0
	v_and_b32_e32 v29, 14, v29
	v_cndmask_b32_e32 v30, v35, v30, vcc
	v_add_u32_e32 v29, v5, v29
	v_cmp_gt_u32_e32 vcc, 64, v0
	s_barrier
	ds_write_b16 v29, v30
	s_waitcnt lgkmcnt(0)
	s_barrier
	s_and_saveexec_b64 s[52:53], vcc
	s_cbranch_execz .LBB95_62
; %bb.49:
	v_lshrrev_b32_e32 v29, 2, v0
	v_and_b32_e32 v29, 62, v29
	v_lshlrev_b32_e32 v31, 3, v0
	v_add_u32_e32 v29, v29, v31
	ds_read_b64 v[36:37], v29
	s_waitcnt lgkmcnt(0)
	v_and_b32_e32 v31, 0xffff0000, v36
	v_lshlrev_b32_e32 v34, 16, v36
	v_mul_f32_e32 v36, v34, v31
	v_bfe_u32 v38, v36, 16, 1
	v_add3_u32 v38, v36, v38, s33
	v_and_b32_e32 v38, 0xffff0000, v38
	v_cmp_o_f32_e32 vcc, v36, v36
	v_lshlrev_b32_e32 v32, 16, v37
	v_cndmask_b32_e32 v36, v33, v38, vcc
	v_mul_f32_e32 v36, v36, v32
	v_bfe_u32 v38, v36, 16, 1
	v_add3_u32 v38, v36, v38, s33
	v_and_b32_e32 v38, 0xffff0000, v38
	v_cmp_o_f32_e32 vcc, v36, v36
	v_cndmask_b32_e32 v36, v33, v38, vcc
	v_and_b32_e32 v33, 0xffff0000, v37
	v_mul_f32_e32 v36, v36, v33
	v_bfe_u32 v37, v36, 16, 1
	v_add3_u32 v37, v36, v37, s33
	v_lshrrev_b32_e32 v37, 16, v37
	v_cmp_o_f32_e32 vcc, v36, v36
	v_cndmask_b32_e32 v36, v35, v37, vcc
	v_mbcnt_lo_u32_b32 v35, -1, 0
	v_mbcnt_hi_u32_b32 v35, -1, v35
	v_and_b32_e32 v38, 15, v35
	v_and_b32_e32 v37, 0xffff, v36
	v_cmp_ne_u32_e32 vcc, 0, v38
	s_nop 0
	v_mov_b32_dpp v39, v37 row_shr:1 row_mask:0xf bank_mask:0xf
	s_and_saveexec_b64 s[54:55], vcc
; %bb.50:
	v_lshlrev_b32_e32 v36, 16, v39
	v_lshlrev_b32_e32 v37, 16, v37
	v_mul_f32_e32 v36, v36, v37
	v_bfe_u32 v37, v36, 16, 1
	v_add3_u32 v37, v36, v37, s33
	v_cmp_o_f32_e32 vcc, v36, v36
	v_mov_b32_e32 v36, 0x7fc0
	v_cndmask_b32_sdwa v36, v36, v37, vcc dst_sel:DWORD dst_unused:UNUSED_PAD src0_sel:DWORD src1_sel:WORD_1
	v_and_b32_e32 v37, 0xffff, v36
; %bb.51:
	s_or_b64 exec, exec, s[54:55]
	s_nop 0
	v_mov_b32_dpp v39, v37 row_shr:2 row_mask:0xf bank_mask:0xf
	v_cmp_lt_u32_e32 vcc, 1, v38
	s_and_saveexec_b64 s[54:55], vcc
; %bb.52:
	v_lshlrev_b32_e32 v36, 16, v39
	v_lshlrev_b32_e32 v37, 16, v37
	v_mul_f32_e32 v36, v37, v36
	v_bfe_u32 v37, v36, 16, 1
	v_add3_u32 v37, v36, v37, s33
	v_cmp_o_f32_e32 vcc, v36, v36
	v_mov_b32_e32 v36, 0x7fc0
	v_cndmask_b32_sdwa v36, v36, v37, vcc dst_sel:DWORD dst_unused:UNUSED_PAD src0_sel:DWORD src1_sel:WORD_1
	v_and_b32_e32 v37, 0xffff, v36
; %bb.53:
	s_or_b64 exec, exec, s[54:55]
	s_nop 0
	v_mov_b32_dpp v39, v37 row_shr:4 row_mask:0xf bank_mask:0xf
	v_cmp_lt_u32_e32 vcc, 3, v38
	;; [unrolled: 16-line block ×3, first 2 shown]
	s_and_saveexec_b64 s[54:55], vcc
; %bb.56:
	v_lshlrev_b32_e32 v36, 16, v39
	v_lshlrev_b32_e32 v37, 16, v37
	v_mul_f32_e32 v36, v37, v36
	v_bfe_u32 v37, v36, 16, 1
	v_add3_u32 v37, v36, v37, s33
	v_cmp_o_f32_e32 vcc, v36, v36
	v_mov_b32_e32 v36, 0x7fc0
	v_cndmask_b32_sdwa v36, v36, v37, vcc dst_sel:DWORD dst_unused:UNUSED_PAD src0_sel:DWORD src1_sel:WORD_1
	v_and_b32_e32 v37, 0xffff, v36
; %bb.57:
	s_or_b64 exec, exec, s[54:55]
	v_and_b32_e32 v39, 16, v35
	v_mov_b32_dpp v38, v37 row_bcast:15 row_mask:0xf bank_mask:0xf
	v_cmp_ne_u32_e32 vcc, 0, v39
	s_and_saveexec_b64 s[54:55], vcc
; %bb.58:
	v_lshlrev_b32_e32 v36, 16, v38
	v_lshlrev_b32_e32 v37, 16, v37
	v_mul_f32_e32 v36, v37, v36
	v_bfe_u32 v37, v36, 16, 1
	v_add3_u32 v37, v36, v37, s33
	v_cmp_o_f32_e32 vcc, v36, v36
	v_mov_b32_e32 v36, 0x7fc0
	v_cndmask_b32_sdwa v36, v36, v37, vcc dst_sel:DWORD dst_unused:UNUSED_PAD src0_sel:DWORD src1_sel:WORD_1
	v_and_b32_e32 v37, 0xffff, v36
; %bb.59:
	s_or_b64 exec, exec, s[54:55]
	s_nop 0
	v_mov_b32_dpp v38, v37 row_bcast:31 row_mask:0xf bank_mask:0xf
	v_cmp_lt_u32_e32 vcc, 31, v35
	s_and_saveexec_b64 s[54:55], vcc
; %bb.60:
	v_lshlrev_b32_e32 v36, 16, v38
	v_lshlrev_b32_e32 v37, 16, v37
	v_mul_f32_e32 v36, v37, v36
	v_bfe_u32 v37, v36, 16, 1
	v_add3_u32 v37, v36, v37, s33
	v_cmp_o_f32_e32 vcc, v36, v36
	v_mov_b32_e32 v36, 0x7fc0
	v_cndmask_b32_sdwa v36, v36, v37, vcc dst_sel:DWORD dst_unused:UNUSED_PAD src0_sel:DWORD src1_sel:WORD_1
; %bb.61:
	s_or_b64 exec, exec, s[54:55]
	v_add_u32_e32 v37, -1, v35
	v_and_b32_e32 v38, 64, v35
	v_cmp_lt_i32_e32 vcc, v37, v38
	v_cndmask_b32_e32 v35, v37, v35, vcc
	v_lshlrev_b32_e32 v35, 2, v35
	v_and_b32_e32 v36, 0xffff, v36
	ds_bpermute_b32 v35, v35, v36
	s_waitcnt lgkmcnt(0)
	v_lshlrev_b32_e32 v35, 16, v35
	v_mul_f32_e32 v34, v34, v35
	v_bfe_u32 v35, v34, 16, 1
	v_add3_u32 v35, v34, v35, s33
	v_cmp_o_f32_e32 vcc, v34, v34
	v_mov_b32_e32 v34, 0x7fc0
	v_cndmask_b32_sdwa v35, v34, v35, vcc dst_sel:DWORD dst_unused:UNUSED_PAD src0_sel:DWORD src1_sel:WORD_1
	v_cmp_eq_u32_e32 vcc, 0, v0
	v_cndmask_b32_e32 v30, v35, v30, vcc
	v_lshlrev_b32_e32 v35, 16, v30
	v_mul_f32_e32 v31, v31, v35
	v_bfe_u32 v35, v31, 16, 1
	v_add3_u32 v35, v31, v35, s33
	v_cmp_o_f32_e32 vcc, v31, v31
	v_cndmask_b32_sdwa v35, v34, v35, vcc dst_sel:DWORD dst_unused:UNUSED_PAD src0_sel:DWORD src1_sel:WORD_1
	v_lshlrev_b32_e32 v31, 16, v35
	v_mul_f32_e32 v31, v32, v31
	v_bfe_u32 v32, v31, 16, 1
	v_add3_u32 v32, v31, v32, s33
	v_cmp_o_f32_e32 vcc, v31, v31
	v_cndmask_b32_sdwa v31, v34, v32, vcc dst_sel:DWORD dst_unused:UNUSED_PAD src0_sel:DWORD src1_sel:WORD_1
	;; [unrolled: 6-line block ×3, first 2 shown]
	s_mov_b32 s33, 0x5040100
	v_perm_b32 v31, v32, v31, s33
	v_perm_b32 v30, v35, v30, s33
	ds_write_b64 v29, v[30:31]
.LBB95_62:
	s_or_b64 exec, exec, s[52:53]
	v_mul_u32_u24_e32 v29, 46, v0
	v_cmp_ne_u32_e32 vcc, 0, v0
	s_waitcnt lgkmcnt(0)
	s_barrier
	s_and_saveexec_b64 s[52:53], vcc
	s_cbranch_execz .LBB95_64
; %bb.63:
	v_add_u32_e32 v0, -1, v0
	v_lshrrev_b32_e32 v1, 4, v0
	v_and_b32_e32 v1, 0xffffffe, v1
	v_lshl_add_u32 v0, v0, 1, v1
	ds_read_u16 v0, v0
	s_movk_i32 s33, 0x7fff
	v_mov_b32_e32 v1, 0x7fc0
	s_waitcnt lgkmcnt(0)
	v_lshlrev_b32_e32 v0, 16, v0
	v_mul_f32_e32 v0, v26, v0
	v_bfe_u32 v26, v0, 16, 1
	v_cmp_o_f32_e32 vcc, v0, v0
	v_add3_u32 v0, v0, v26, s33
	v_cndmask_b32_sdwa v1, v1, v0, vcc dst_sel:DWORD dst_unused:UNUSED_PAD src0_sel:DWORD src1_sel:WORD_1
	v_lshlrev_b32_e32 v0, 16, v1
	v_mul_f32_e32 v27, v25, v0
	v_bfe_u32 v0, v27, 16, 1
	v_add3_u32 v28, v27, v0, s33
.LBB95_64:
	s_or_b64 exec, exec, s[52:53]
	v_cmp_o_f32_e32 vcc, v27, v27
	v_mov_b32_e32 v0, 0x7fc0
	v_cndmask_b32_sdwa v25, v0, v28, vcc dst_sel:DWORD dst_unused:UNUSED_PAD src0_sel:DWORD src1_sel:WORD_1
	v_lshlrev_b32_e32 v26, 16, v25
	v_mul_f32_e32 v24, v24, v26
	v_bfe_u32 v26, v24, 16, 1
	s_movk_i32 s33, 0x7fff
	v_add3_u32 v26, v24, v26, s33
	v_lshrrev_b32_e32 v26, 16, v26
	v_cmp_o_f32_e32 vcc, v24, v24
	v_cndmask_b32_e32 v24, v0, v26, vcc
	v_lshlrev_b32_e32 v26, 16, v24
	v_mul_f32_e32 v2, v2, v26
	v_bfe_u32 v26, v2, 16, 1
	v_add3_u32 v26, v2, v26, s33
	v_lshrrev_b32_e32 v26, 16, v26
	v_cmp_o_f32_e32 vcc, v2, v2
	v_cndmask_b32_e32 v2, v0, v26, vcc
	v_lshlrev_b32_e32 v26, 16, v2
	v_mul_f32_e32 v6, v6, v26
	v_bfe_u32 v26, v6, 16, 1
	;; [unrolled: 7-line block ×21, first 2 shown]
	v_add3_u32 v26, v23, v26, s33
	v_lshrrev_b32_e32 v26, 16, v26
	v_cmp_o_f32_e32 vcc, v23, v23
	s_mov_b32 s33, 0x5040100
	v_cndmask_b32_e32 v23, v0, v26, vcc
	v_add_u32_e32 v26, v5, v29
	v_perm_b32 v4, v4, v7, s33
	v_perm_b32 v3, v3, v6, s33
	;; [unrolled: 1-line block ×4, first 2 shown]
	s_barrier
	ds_write_b128 v26, v[1:4]
	v_perm_b32 v3, v15, v14, s33
	v_perm_b32 v2, v13, v12, s33
	v_perm_b32 v1, v11, v10, s33
	v_perm_b32 v0, v9, v8, s33
	ds_write_b128 v26, v[0:3] offset:16
	v_perm_b32 v3, v23, v22, s33
	v_perm_b32 v2, v21, v20, s33
	;; [unrolled: 1-line block ×4, first 2 shown]
	ds_write_b128 v26, v[0:3] offset:32
	s_waitcnt lgkmcnt(0)
	s_barrier
	ds_read_u16 v25, v5 offset:512
	ds_read_u16 v24, v5 offset:1024
	ds_read_u16 v23, v5 offset:1536
	ds_read_u16 v22, v5 offset:2048
	ds_read_u16 v21, v5 offset:2560
	ds_read_u16 v20, v5 offset:3072
	ds_read_u16 v19, v5 offset:3584
	ds_read_u16 v18, v5 offset:4096
	ds_read_u16 v17, v5 offset:4608
	ds_read_u16 v16, v5 offset:5120
	ds_read_u16 v15, v5 offset:5632
	ds_read_u16 v14, v5 offset:6144
	ds_read_u16 v13, v5 offset:6656
	ds_read_u16 v12, v5 offset:7168
	ds_read_u16 v11, v5 offset:7680
	ds_read_u16 v10, v5 offset:8192
	ds_read_u16 v9, v5 offset:8704
	ds_read_u16 v8, v5 offset:9216
	ds_read_u16 v7, v5 offset:9728
	ds_read_u16 v6, v5 offset:10240
	ds_read_u16 v4, v5 offset:10752
	ds_read_u16 v3, v5 offset:11264
	ds_read_u16 v2, v5 offset:11776
	s_load_dwordx2 s[4:5], s[4:5], 0x18
	s_waitcnt lgkmcnt(0)
	v_mov_b32_e32 v1, s5
	v_add_co_u32_e32 v0, vcc, s4, v5
	v_addc_co_u32_e32 v1, vcc, 0, v1, vcc
	s_and_saveexec_b64 s[4:5], s[0:1]
	s_cbranch_execnz .LBB95_89
; %bb.65:
	s_or_b64 exec, exec, s[4:5]
	s_and_saveexec_b64 s[0:1], s[2:3]
	s_cbranch_execnz .LBB95_90
.LBB95_66:
	s_or_b64 exec, exec, s[0:1]
	s_and_saveexec_b64 s[0:1], s[50:51]
	s_cbranch_execnz .LBB95_91
.LBB95_67:
	s_or_b64 exec, exec, s[0:1]
	s_and_saveexec_b64 s[0:1], s[6:7]
	s_cbranch_execnz .LBB95_92
.LBB95_68:
	s_or_b64 exec, exec, s[0:1]
	s_and_saveexec_b64 s[0:1], s[8:9]
	s_cbranch_execnz .LBB95_93
.LBB95_69:
	s_or_b64 exec, exec, s[0:1]
	s_and_saveexec_b64 s[0:1], s[10:11]
	s_cbranch_execnz .LBB95_94
.LBB95_70:
	s_or_b64 exec, exec, s[0:1]
	s_and_saveexec_b64 s[0:1], s[12:13]
	s_cbranch_execnz .LBB95_95
.LBB95_71:
	s_or_b64 exec, exec, s[0:1]
	s_and_saveexec_b64 s[0:1], s[14:15]
	s_cbranch_execnz .LBB95_96
.LBB95_72:
	s_or_b64 exec, exec, s[0:1]
	s_and_saveexec_b64 s[0:1], s[16:17]
	s_cbranch_execnz .LBB95_97
.LBB95_73:
	s_or_b64 exec, exec, s[0:1]
	s_and_saveexec_b64 s[0:1], s[18:19]
	s_cbranch_execnz .LBB95_98
.LBB95_74:
	s_or_b64 exec, exec, s[0:1]
	s_and_saveexec_b64 s[0:1], s[20:21]
	s_cbranch_execnz .LBB95_99
.LBB95_75:
	s_or_b64 exec, exec, s[0:1]
	s_and_saveexec_b64 s[0:1], s[22:23]
	s_cbranch_execnz .LBB95_100
.LBB95_76:
	s_or_b64 exec, exec, s[0:1]
	s_and_saveexec_b64 s[0:1], s[24:25]
	s_cbranch_execnz .LBB95_101
.LBB95_77:
	s_or_b64 exec, exec, s[0:1]
	s_and_saveexec_b64 s[0:1], s[26:27]
	s_cbranch_execnz .LBB95_102
.LBB95_78:
	s_or_b64 exec, exec, s[0:1]
	s_and_saveexec_b64 s[0:1], s[28:29]
	s_cbranch_execnz .LBB95_103
.LBB95_79:
	s_or_b64 exec, exec, s[0:1]
	s_and_saveexec_b64 s[0:1], s[30:31]
	s_cbranch_execnz .LBB95_104
.LBB95_80:
	s_or_b64 exec, exec, s[0:1]
	s_and_saveexec_b64 s[0:1], s[34:35]
	s_cbranch_execnz .LBB95_105
.LBB95_81:
	s_or_b64 exec, exec, s[0:1]
	s_and_saveexec_b64 s[0:1], s[36:37]
	s_cbranch_execnz .LBB95_106
.LBB95_82:
	s_or_b64 exec, exec, s[0:1]
	s_and_saveexec_b64 s[0:1], s[38:39]
	s_cbranch_execnz .LBB95_107
.LBB95_83:
	s_or_b64 exec, exec, s[0:1]
	s_and_saveexec_b64 s[0:1], s[40:41]
	s_cbranch_execnz .LBB95_108
.LBB95_84:
	s_or_b64 exec, exec, s[0:1]
	s_and_saveexec_b64 s[0:1], s[42:43]
	s_cbranch_execnz .LBB95_109
.LBB95_85:
	s_or_b64 exec, exec, s[0:1]
	s_and_saveexec_b64 s[0:1], s[44:45]
	s_cbranch_execnz .LBB95_110
.LBB95_86:
	s_or_b64 exec, exec, s[0:1]
	s_and_saveexec_b64 s[0:1], s[46:47]
	s_cbranch_execnz .LBB95_111
.LBB95_87:
	s_or_b64 exec, exec, s[0:1]
	s_and_saveexec_b64 s[0:1], s[48:49]
	s_cbranch_execnz .LBB95_112
.LBB95_88:
	s_endpgm
.LBB95_89:
	ds_read_u16 v5, v5
	s_waitcnt lgkmcnt(0)
	global_store_short v[0:1], v5, off
	s_or_b64 exec, exec, s[4:5]
	s_and_saveexec_b64 s[0:1], s[2:3]
	s_cbranch_execz .LBB95_66
.LBB95_90:
	global_store_short v[0:1], v25, off offset:512
	s_or_b64 exec, exec, s[0:1]
	s_and_saveexec_b64 s[0:1], s[50:51]
	s_cbranch_execz .LBB95_67
.LBB95_91:
	global_store_short v[0:1], v24, off offset:1024
	s_or_b64 exec, exec, s[0:1]
	s_and_saveexec_b64 s[0:1], s[6:7]
	s_cbranch_execz .LBB95_68
.LBB95_92:
	global_store_short v[0:1], v23, off offset:1536
	s_or_b64 exec, exec, s[0:1]
	s_and_saveexec_b64 s[0:1], s[8:9]
	s_cbranch_execz .LBB95_69
.LBB95_93:
	global_store_short v[0:1], v22, off offset:2048
	s_or_b64 exec, exec, s[0:1]
	s_and_saveexec_b64 s[0:1], s[10:11]
	s_cbranch_execz .LBB95_70
.LBB95_94:
	global_store_short v[0:1], v21, off offset:2560
	s_or_b64 exec, exec, s[0:1]
	s_and_saveexec_b64 s[0:1], s[12:13]
	s_cbranch_execz .LBB95_71
.LBB95_95:
	global_store_short v[0:1], v20, off offset:3072
	s_or_b64 exec, exec, s[0:1]
	s_and_saveexec_b64 s[0:1], s[14:15]
	s_cbranch_execz .LBB95_72
.LBB95_96:
	global_store_short v[0:1], v19, off offset:3584
	s_or_b64 exec, exec, s[0:1]
	s_and_saveexec_b64 s[0:1], s[16:17]
	s_cbranch_execz .LBB95_73
.LBB95_97:
	v_add_co_u32_e32 v19, vcc, 0x1000, v0
	v_addc_co_u32_e32 v20, vcc, 0, v1, vcc
	global_store_short v[19:20], v18, off
	s_or_b64 exec, exec, s[0:1]
	s_and_saveexec_b64 s[0:1], s[18:19]
	s_cbranch_execz .LBB95_74
.LBB95_98:
	v_add_co_u32_e32 v18, vcc, 0x1000, v0
	v_addc_co_u32_e32 v19, vcc, 0, v1, vcc
	global_store_short v[18:19], v17, off offset:512
	s_or_b64 exec, exec, s[0:1]
	s_and_saveexec_b64 s[0:1], s[20:21]
	s_cbranch_execz .LBB95_75
.LBB95_99:
	v_add_co_u32_e32 v17, vcc, 0x1000, v0
	v_addc_co_u32_e32 v18, vcc, 0, v1, vcc
	global_store_short v[17:18], v16, off offset:1024
	s_or_b64 exec, exec, s[0:1]
	s_and_saveexec_b64 s[0:1], s[22:23]
	s_cbranch_execz .LBB95_76
.LBB95_100:
	v_add_co_u32_e32 v16, vcc, 0x1000, v0
	v_addc_co_u32_e32 v17, vcc, 0, v1, vcc
	global_store_short v[16:17], v15, off offset:1536
	s_or_b64 exec, exec, s[0:1]
	s_and_saveexec_b64 s[0:1], s[24:25]
	s_cbranch_execz .LBB95_77
.LBB95_101:
	v_add_co_u32_e32 v15, vcc, 0x1000, v0
	v_addc_co_u32_e32 v16, vcc, 0, v1, vcc
	global_store_short v[15:16], v14, off offset:2048
	s_or_b64 exec, exec, s[0:1]
	s_and_saveexec_b64 s[0:1], s[26:27]
	s_cbranch_execz .LBB95_78
.LBB95_102:
	v_add_co_u32_e32 v14, vcc, 0x1000, v0
	v_addc_co_u32_e32 v15, vcc, 0, v1, vcc
	global_store_short v[14:15], v13, off offset:2560
	s_or_b64 exec, exec, s[0:1]
	s_and_saveexec_b64 s[0:1], s[28:29]
	s_cbranch_execz .LBB95_79
.LBB95_103:
	v_add_co_u32_e32 v13, vcc, 0x1000, v0
	v_addc_co_u32_e32 v14, vcc, 0, v1, vcc
	global_store_short v[13:14], v12, off offset:3072
	s_or_b64 exec, exec, s[0:1]
	s_and_saveexec_b64 s[0:1], s[30:31]
	s_cbranch_execz .LBB95_80
.LBB95_104:
	v_add_co_u32_e32 v12, vcc, 0x1000, v0
	v_addc_co_u32_e32 v13, vcc, 0, v1, vcc
	global_store_short v[12:13], v11, off offset:3584
	s_or_b64 exec, exec, s[0:1]
	s_and_saveexec_b64 s[0:1], s[34:35]
	s_cbranch_execz .LBB95_81
.LBB95_105:
	v_add_co_u32_e32 v11, vcc, 0x2000, v0
	v_addc_co_u32_e32 v12, vcc, 0, v1, vcc
	global_store_short v[11:12], v10, off
	s_or_b64 exec, exec, s[0:1]
	s_and_saveexec_b64 s[0:1], s[36:37]
	s_cbranch_execz .LBB95_82
.LBB95_106:
	v_add_co_u32_e32 v10, vcc, 0x2000, v0
	v_addc_co_u32_e32 v11, vcc, 0, v1, vcc
	global_store_short v[10:11], v9, off offset:512
	s_or_b64 exec, exec, s[0:1]
	s_and_saveexec_b64 s[0:1], s[38:39]
	s_cbranch_execz .LBB95_83
.LBB95_107:
	v_add_co_u32_e32 v9, vcc, 0x2000, v0
	v_addc_co_u32_e32 v10, vcc, 0, v1, vcc
	global_store_short v[9:10], v8, off offset:1024
	s_or_b64 exec, exec, s[0:1]
	s_and_saveexec_b64 s[0:1], s[40:41]
	s_cbranch_execz .LBB95_84
.LBB95_108:
	v_add_co_u32_e32 v8, vcc, 0x2000, v0
	v_addc_co_u32_e32 v9, vcc, 0, v1, vcc
	global_store_short v[8:9], v7, off offset:1536
	s_or_b64 exec, exec, s[0:1]
	s_and_saveexec_b64 s[0:1], s[42:43]
	s_cbranch_execz .LBB95_85
.LBB95_109:
	v_add_co_u32_e32 v7, vcc, 0x2000, v0
	v_addc_co_u32_e32 v8, vcc, 0, v1, vcc
	global_store_short v[7:8], v6, off offset:2048
	s_or_b64 exec, exec, s[0:1]
	s_and_saveexec_b64 s[0:1], s[44:45]
	s_cbranch_execz .LBB95_86
.LBB95_110:
	v_add_co_u32_e32 v5, vcc, 0x2000, v0
	v_addc_co_u32_e32 v6, vcc, 0, v1, vcc
	global_store_short v[5:6], v4, off offset:2560
	s_or_b64 exec, exec, s[0:1]
	s_and_saveexec_b64 s[0:1], s[46:47]
	s_cbranch_execz .LBB95_87
.LBB95_111:
	v_add_co_u32_e32 v4, vcc, 0x2000, v0
	v_addc_co_u32_e32 v5, vcc, 0, v1, vcc
	global_store_short v[4:5], v3, off offset:3072
	s_or_b64 exec, exec, s[0:1]
	s_and_saveexec_b64 s[0:1], s[48:49]
	s_cbranch_execz .LBB95_88
.LBB95_112:
	v_add_co_u32_e32 v0, vcc, 0x2000, v0
	v_addc_co_u32_e32 v1, vcc, 0, v1, vcc
	global_store_short v[0:1], v2, off offset:3584
	s_endpgm
	.section	.rodata,"a",@progbits
	.p2align	6, 0x0
	.amdhsa_kernel _ZN7rocprim17ROCPRIM_304000_NS6detail18single_scan_kernelILb0ENS1_19wrapped_scan_configINS0_14default_configEN3c108BFloat16EEEPKS6_PS6_St10multipliesIS6_ES6_S6_EEvT1_mT4_T2_T3_
		.amdhsa_group_segment_fixed_size 12288
		.amdhsa_private_segment_fixed_size 0
		.amdhsa_kernarg_size 36
		.amdhsa_user_sgpr_count 6
		.amdhsa_user_sgpr_private_segment_buffer 1
		.amdhsa_user_sgpr_dispatch_ptr 0
		.amdhsa_user_sgpr_queue_ptr 0
		.amdhsa_user_sgpr_kernarg_segment_ptr 1
		.amdhsa_user_sgpr_dispatch_id 0
		.amdhsa_user_sgpr_flat_scratch_init 0
		.amdhsa_user_sgpr_private_segment_size 0
		.amdhsa_uses_dynamic_stack 0
		.amdhsa_system_sgpr_private_segment_wavefront_offset 0
		.amdhsa_system_sgpr_workgroup_id_x 1
		.amdhsa_system_sgpr_workgroup_id_y 0
		.amdhsa_system_sgpr_workgroup_id_z 0
		.amdhsa_system_sgpr_workgroup_info 0
		.amdhsa_system_vgpr_workitem_id 0
		.amdhsa_next_free_vgpr 41
		.amdhsa_next_free_sgpr 98
		.amdhsa_reserve_vcc 1
		.amdhsa_reserve_flat_scratch 0
		.amdhsa_float_round_mode_32 0
		.amdhsa_float_round_mode_16_64 0
		.amdhsa_float_denorm_mode_32 3
		.amdhsa_float_denorm_mode_16_64 3
		.amdhsa_dx10_clamp 1
		.amdhsa_ieee_mode 1
		.amdhsa_fp16_overflow 0
		.amdhsa_exception_fp_ieee_invalid_op 0
		.amdhsa_exception_fp_denorm_src 0
		.amdhsa_exception_fp_ieee_div_zero 0
		.amdhsa_exception_fp_ieee_overflow 0
		.amdhsa_exception_fp_ieee_underflow 0
		.amdhsa_exception_fp_ieee_inexact 0
		.amdhsa_exception_int_div_zero 0
	.end_amdhsa_kernel
	.section	.text._ZN7rocprim17ROCPRIM_304000_NS6detail18single_scan_kernelILb0ENS1_19wrapped_scan_configINS0_14default_configEN3c108BFloat16EEEPKS6_PS6_St10multipliesIS6_ES6_S6_EEvT1_mT4_T2_T3_,"axG",@progbits,_ZN7rocprim17ROCPRIM_304000_NS6detail18single_scan_kernelILb0ENS1_19wrapped_scan_configINS0_14default_configEN3c108BFloat16EEEPKS6_PS6_St10multipliesIS6_ES6_S6_EEvT1_mT4_T2_T3_,comdat
.Lfunc_end95:
	.size	_ZN7rocprim17ROCPRIM_304000_NS6detail18single_scan_kernelILb0ENS1_19wrapped_scan_configINS0_14default_configEN3c108BFloat16EEEPKS6_PS6_St10multipliesIS6_ES6_S6_EEvT1_mT4_T2_T3_, .Lfunc_end95-_ZN7rocprim17ROCPRIM_304000_NS6detail18single_scan_kernelILb0ENS1_19wrapped_scan_configINS0_14default_configEN3c108BFloat16EEEPKS6_PS6_St10multipliesIS6_ES6_S6_EEvT1_mT4_T2_T3_
                                        ; -- End function
	.set _ZN7rocprim17ROCPRIM_304000_NS6detail18single_scan_kernelILb0ENS1_19wrapped_scan_configINS0_14default_configEN3c108BFloat16EEEPKS6_PS6_St10multipliesIS6_ES6_S6_EEvT1_mT4_T2_T3_.num_vgpr, 40
	.set _ZN7rocprim17ROCPRIM_304000_NS6detail18single_scan_kernelILb0ENS1_19wrapped_scan_configINS0_14default_configEN3c108BFloat16EEEPKS6_PS6_St10multipliesIS6_ES6_S6_EEvT1_mT4_T2_T3_.num_agpr, 0
	.set _ZN7rocprim17ROCPRIM_304000_NS6detail18single_scan_kernelILb0ENS1_19wrapped_scan_configINS0_14default_configEN3c108BFloat16EEEPKS6_PS6_St10multipliesIS6_ES6_S6_EEvT1_mT4_T2_T3_.numbered_sgpr, 56
	.set _ZN7rocprim17ROCPRIM_304000_NS6detail18single_scan_kernelILb0ENS1_19wrapped_scan_configINS0_14default_configEN3c108BFloat16EEEPKS6_PS6_St10multipliesIS6_ES6_S6_EEvT1_mT4_T2_T3_.num_named_barrier, 0
	.set _ZN7rocprim17ROCPRIM_304000_NS6detail18single_scan_kernelILb0ENS1_19wrapped_scan_configINS0_14default_configEN3c108BFloat16EEEPKS6_PS6_St10multipliesIS6_ES6_S6_EEvT1_mT4_T2_T3_.private_seg_size, 0
	.set _ZN7rocprim17ROCPRIM_304000_NS6detail18single_scan_kernelILb0ENS1_19wrapped_scan_configINS0_14default_configEN3c108BFloat16EEEPKS6_PS6_St10multipliesIS6_ES6_S6_EEvT1_mT4_T2_T3_.uses_vcc, 1
	.set _ZN7rocprim17ROCPRIM_304000_NS6detail18single_scan_kernelILb0ENS1_19wrapped_scan_configINS0_14default_configEN3c108BFloat16EEEPKS6_PS6_St10multipliesIS6_ES6_S6_EEvT1_mT4_T2_T3_.uses_flat_scratch, 0
	.set _ZN7rocprim17ROCPRIM_304000_NS6detail18single_scan_kernelILb0ENS1_19wrapped_scan_configINS0_14default_configEN3c108BFloat16EEEPKS6_PS6_St10multipliesIS6_ES6_S6_EEvT1_mT4_T2_T3_.has_dyn_sized_stack, 0
	.set _ZN7rocprim17ROCPRIM_304000_NS6detail18single_scan_kernelILb0ENS1_19wrapped_scan_configINS0_14default_configEN3c108BFloat16EEEPKS6_PS6_St10multipliesIS6_ES6_S6_EEvT1_mT4_T2_T3_.has_recursion, 0
	.set _ZN7rocprim17ROCPRIM_304000_NS6detail18single_scan_kernelILb0ENS1_19wrapped_scan_configINS0_14default_configEN3c108BFloat16EEEPKS6_PS6_St10multipliesIS6_ES6_S6_EEvT1_mT4_T2_T3_.has_indirect_call, 0
	.section	.AMDGPU.csdata,"",@progbits
; Kernel info:
; codeLenInByte = 5624
; TotalNumSgprs: 60
; NumVgprs: 40
; ScratchSize: 0
; MemoryBound: 0
; FloatMode: 240
; IeeeMode: 1
; LDSByteSize: 12288 bytes/workgroup (compile time only)
; SGPRBlocks: 12
; VGPRBlocks: 10
; NumSGPRsForWavesPerEU: 102
; NumVGPRsForWavesPerEU: 41
; Occupancy: 5
; WaveLimiterHint : 0
; COMPUTE_PGM_RSRC2:SCRATCH_EN: 0
; COMPUTE_PGM_RSRC2:USER_SGPR: 6
; COMPUTE_PGM_RSRC2:TRAP_HANDLER: 0
; COMPUTE_PGM_RSRC2:TGID_X_EN: 1
; COMPUTE_PGM_RSRC2:TGID_Y_EN: 0
; COMPUTE_PGM_RSRC2:TGID_Z_EN: 0
; COMPUTE_PGM_RSRC2:TIDIG_COMP_CNT: 0
	.section	.text._ZN2at6native32tensor_kernel_scan_innermost_dimIN3c108BFloat16ESt10multipliesIS3_EEEvPT_PKS6_jjjS6_T0_,"axG",@progbits,_ZN2at6native32tensor_kernel_scan_innermost_dimIN3c108BFloat16ESt10multipliesIS3_EEEvPT_PKS6_jjjS6_T0_,comdat
	.protected	_ZN2at6native32tensor_kernel_scan_innermost_dimIN3c108BFloat16ESt10multipliesIS3_EEEvPT_PKS6_jjjS6_T0_ ; -- Begin function _ZN2at6native32tensor_kernel_scan_innermost_dimIN3c108BFloat16ESt10multipliesIS3_EEEvPT_PKS6_jjjS6_T0_
	.globl	_ZN2at6native32tensor_kernel_scan_innermost_dimIN3c108BFloat16ESt10multipliesIS3_EEEvPT_PKS6_jjjS6_T0_
	.p2align	8
	.type	_ZN2at6native32tensor_kernel_scan_innermost_dimIN3c108BFloat16ESt10multipliesIS3_EEEvPT_PKS6_jjjS6_T0_,@function
_ZN2at6native32tensor_kernel_scan_innermost_dimIN3c108BFloat16ESt10multipliesIS3_EEEvPT_PKS6_jjjS6_T0_: ; @_ZN2at6native32tensor_kernel_scan_innermost_dimIN3c108BFloat16ESt10multipliesIS3_EEEvPT_PKS6_jjjS6_T0_
; %bb.0:
	s_load_dwordx8 s[12:19], s[4:5], 0x0
	v_mov_b32_e32 v2, v1
	s_waitcnt lgkmcnt(0)
	s_lshl_b32 s7, 2, s18
	v_mul_lo_u32 v1, s7, v2
	s_mul_hi_u32 s0, s16, s17
	s_cmp_lg_u32 s0, 0
	s_mov_b64 s[0:1], -1
	v_lshl_add_u32 v10, v1, 1, 0
	s_cbranch_scc1 .LBB96_26
; %bb.1:
	s_load_dword s2, s[4:5], 0x2c
	s_add_u32 s0, s4, 32
	s_addc_u32 s1, s5, 0
	s_waitcnt lgkmcnt(0)
	s_lshr_b32 s2, s2, 16
	s_mul_i32 s24, s6, s2
	s_cmp_ge_u32 s24, s16
	s_cbranch_scc1 .LBB96_25
; %bb.2:
	s_load_dword s26, s[0:1], 0x0
	s_lshl_b32 s25, 1, s18
	s_cmp_lg_u32 s17, 0
	s_cselect_b64 s[8:9], -1, 0
	v_lshl_add_u32 v1, v0, 1, v10
	s_lshl_b32 s3, s7, 1
	v_cndmask_b32_e64 v3, 0, 1, s[8:9]
	v_lshl_add_u32 v7, s25, 1, v1
	v_cmp_eq_u32_e64 s[0:1], 0, v0
	v_add3_u32 v8, v10, s3, -2
	s_waitcnt lgkmcnt(0)
	s_mul_i32 s26, s26, s2
	s_add_i32 s27, s18, 1
	v_cmp_ne_u32_e64 s[2:3], 1, v3
	v_mov_b32_e32 v4, 0
	s_movk_i32 s28, 0x7fff
	v_mov_b32_e32 v9, 0x7fc0
	s_branch .LBB96_4
.LBB96_3:                               ;   in Loop: Header=BB96_4 Depth=1
	s_add_i32 s24, s24, s26
	s_cmp_ge_u32 s24, s16
	s_cbranch_scc1 .LBB96_25
.LBB96_4:                               ; =>This Loop Header: Depth=1
                                        ;     Child Loop BB96_7 Depth 2
                                        ;       Child Loop BB96_16 Depth 3
	s_and_b64 vcc, exec, s[2:3]
	s_cbranch_vccnz .LBB96_3
; %bb.5:                                ;   in Loop: Header=BB96_4 Depth=1
	v_add_u32_e32 v15, s24, v2
	v_mul_lo_u32 v3, v15, s17
	v_mov_b32_e32 v12, s15
	v_cmp_gt_u32_e64 s[10:11], s16, v15
	v_cmp_le_u32_e64 s[8:9], s16, v15
	v_lshlrev_b64 v[5:6], 1, v[3:4]
	v_mov_b32_e32 v3, s13
	v_add_co_u32_e32 v11, vcc, s14, v5
	v_addc_co_u32_e32 v12, vcc, v12, v6, vcc
	v_add_co_u32_e32 v13, vcc, s12, v5
	v_addc_co_u32_e32 v14, vcc, v3, v6, vcc
	s_mov_b32 s29, 0
	v_mov_b32_e32 v15, s19
	s_branch .LBB96_7
.LBB96_6:                               ;   in Loop: Header=BB96_7 Depth=2
	s_or_b64 exec, exec, s[20:21]
	ds_read_u16 v15, v8
	s_add_i32 s29, s29, s7
	s_cmp_ge_u32 s29, s17
	s_waitcnt vmcnt(0) lgkmcnt(0)
	s_barrier
	s_cbranch_scc1 .LBB96_3
.LBB96_7:                               ;   Parent Loop BB96_4 Depth=1
                                        ; =>  This Loop Header: Depth=2
                                        ;       Child Loop BB96_16 Depth 3
	v_add_u32_e32 v3, s29, v0
	v_add_u32_e32 v5, s25, v3
	s_and_saveexec_b64 s[20:21], s[10:11]
	s_cbranch_execz .LBB96_14
; %bb.8:                                ;   in Loop: Header=BB96_7 Depth=2
	v_cmp_gt_u32_e32 vcc, s17, v3
	v_mov_b32_e32 v6, s19
	s_and_saveexec_b64 s[22:23], vcc
	s_cbranch_execz .LBB96_10
; %bb.9:                                ;   in Loop: Header=BB96_7 Depth=2
	v_lshlrev_b64 v[16:17], 1, v[3:4]
	v_add_co_u32_e32 v16, vcc, v11, v16
	v_addc_co_u32_e32 v17, vcc, v12, v17, vcc
	global_load_ushort v6, v[16:17], off
.LBB96_10:                              ;   in Loop: Header=BB96_7 Depth=2
	s_or_b64 exec, exec, s[22:23]
	s_waitcnt vmcnt(0)
	ds_write_b16 v1, v6
	v_cmp_gt_u32_e32 vcc, s17, v5
	v_mov_b32_e32 v6, s19
	s_and_saveexec_b64 s[22:23], vcc
	s_cbranch_execz .LBB96_12
; %bb.11:                               ;   in Loop: Header=BB96_7 Depth=2
	v_mov_b32_e32 v6, v4
	v_lshlrev_b64 v[16:17], 1, v[5:6]
	v_add_co_u32_e32 v16, vcc, v11, v16
	v_addc_co_u32_e32 v17, vcc, v12, v17, vcc
	global_load_ushort v6, v[16:17], off
.LBB96_12:                              ;   in Loop: Header=BB96_7 Depth=2
	s_or_b64 exec, exec, s[22:23]
	s_waitcnt vmcnt(0)
	ds_write_b16 v7, v6
	s_and_b64 exec, exec, s[0:1]
	s_cbranch_execz .LBB96_14
; %bb.13:                               ;   in Loop: Header=BB96_7 Depth=2
	ds_read_u16 v6, v10
	v_lshlrev_b32_e32 v15, 16, v15
	s_waitcnt lgkmcnt(0)
	v_lshlrev_b32_e32 v6, 16, v6
	v_mul_f32_e32 v6, v15, v6
	v_bfe_u32 v15, v6, 16, 1
	v_cmp_o_f32_e32 vcc, v6, v6
	v_add3_u32 v6, v6, v15, s28
	v_cndmask_b32_sdwa v6, v9, v6, vcc dst_sel:DWORD dst_unused:UNUSED_PAD src0_sel:DWORD src1_sel:WORD_1
	ds_write_b16 v10, v6
.LBB96_14:                              ;   in Loop: Header=BB96_7 Depth=2
	s_or_b64 exec, exec, s[20:21]
	v_mov_b32_e32 v6, 0
	s_mov_b64 s[20:21], 0
	s_waitcnt lgkmcnt(0)
	s_barrier
	s_branch .LBB96_16
.LBB96_15:                              ;   in Loop: Header=BB96_16 Depth=3
	s_or_b64 exec, exec, s[22:23]
	v_cmp_eq_u32_e32 vcc, s27, v6
	s_or_b64 s[20:21], vcc, s[20:21]
	s_waitcnt lgkmcnt(0)
	s_barrier
	s_andn2_b64 exec, exec, s[20:21]
	s_cbranch_execz .LBB96_20
.LBB96_16:                              ;   Parent Loop BB96_4 Depth=1
                                        ;     Parent Loop BB96_7 Depth=2
                                        ; =>    This Inner Loop Header: Depth=3
	v_add_u32_e32 v15, 1, v6
	s_and_saveexec_b64 s[22:23], s[8:9]
	s_xor_b64 s[22:23], exec, s[22:23]
; %bb.17:                               ;   in Loop: Header=BB96_16 Depth=3
	v_add_u32_e32 v6, 1, v6
                                        ; implicit-def: $vgpr15
; %bb.18:                               ;   in Loop: Header=BB96_16 Depth=3
	s_andn2_saveexec_b64 s[22:23], s[22:23]
	s_cbranch_execz .LBB96_15
; %bb.19:                               ;   in Loop: Header=BB96_16 Depth=3
	v_lshlrev_b32_e64 v16, v6, 1
	v_lshrrev_b32_e32 v17, v6, v0
	v_lshl_or_b32 v16, v17, v15, v16
	v_bfm_b32 v6, v6, 0
	v_and_b32_e32 v6, v6, v0
	v_lshl_add_u32 v16, v16, 1, v10
	v_lshl_add_u32 v6, v6, 1, v16
	v_add_u32_e32 v16, -2, v16
	ds_read_u16 v16, v16
	ds_read_u16 v17, v6
	s_waitcnt lgkmcnt(1)
	v_lshlrev_b32_e32 v16, 16, v16
	s_waitcnt lgkmcnt(0)
	v_lshlrev_b32_e32 v17, 16, v17
	v_mul_f32_e32 v16, v17, v16
	v_bfe_u32 v17, v16, 16, 1
	v_add3_u32 v17, v16, v17, s28
	v_cmp_o_f32_e32 vcc, v16, v16
	v_cndmask_b32_sdwa v16, v9, v17, vcc dst_sel:DWORD dst_unused:UNUSED_PAD src0_sel:DWORD src1_sel:WORD_1
	ds_write_b16 v6, v16
	v_mov_b32_e32 v6, v15
	s_branch .LBB96_15
.LBB96_20:                              ;   in Loop: Header=BB96_7 Depth=2
	s_or_b64 exec, exec, s[20:21]
	s_and_saveexec_b64 s[20:21], s[10:11]
	s_cbranch_execz .LBB96_6
; %bb.21:                               ;   in Loop: Header=BB96_7 Depth=2
	v_cmp_gt_u32_e32 vcc, s17, v3
	s_and_saveexec_b64 s[22:23], vcc
	s_cbranch_execz .LBB96_23
; %bb.22:                               ;   in Loop: Header=BB96_7 Depth=2
	v_lshlrev_b64 v[15:16], 1, v[3:4]
	ds_read_u16 v3, v1
	v_add_co_u32_e32 v15, vcc, v13, v15
	v_addc_co_u32_e32 v16, vcc, v14, v16, vcc
	s_waitcnt lgkmcnt(0)
	global_store_short v[15:16], v3, off
.LBB96_23:                              ;   in Loop: Header=BB96_7 Depth=2
	s_or_b64 exec, exec, s[22:23]
	v_cmp_gt_u32_e32 vcc, s17, v5
	s_and_b64 exec, exec, vcc
	s_cbranch_execz .LBB96_6
; %bb.24:                               ;   in Loop: Header=BB96_7 Depth=2
	v_mov_b32_e32 v6, v4
	ds_read_u16 v3, v7
	v_lshlrev_b64 v[5:6], 1, v[5:6]
	v_add_co_u32_e32 v5, vcc, v13, v5
	v_addc_co_u32_e32 v6, vcc, v14, v6, vcc
	s_waitcnt lgkmcnt(0)
	global_store_short v[5:6], v3, off
	s_branch .LBB96_6
.LBB96_25:
	s_mov_b64 s[0:1], 0
.LBB96_26:
	s_andn2_b64 vcc, exec, s[0:1]
	s_cbranch_vccnz .LBB96_53
; %bb.27:
	s_load_dword s2, s[4:5], 0x2c
	s_add_u32 s0, s4, 32
	s_mov_b32 s8, s16
	s_mov_b32 s9, 0
	s_addc_u32 s1, s5, 0
	s_waitcnt lgkmcnt(0)
	s_lshr_b32 s2, s2, 16
	v_mov_b32_e32 v3, s8
	s_mul_hi_u32 s11, s2, s6
	s_mul_i32 s10, s2, s6
	v_mov_b32_e32 v4, s9
	v_cmp_ge_u64_e32 vcc, s[10:11], v[3:4]
	s_cbranch_vccnz .LBB96_53
; %bb.28:
	s_lshl_b32 s20, 1, s18
	s_load_dword s5, s[0:1], 0x0
	s_and_b32 s4, 0xffff, s2
	s_ashr_i32 s21, s20, 31
	s_cmp_lg_u32 s17, 0
	s_mov_b32 s22, s17
	s_cselect_b64 s[2:3], -1, 0
	s_lshl_b64 s[16:17], s[20:21], 1
	v_lshl_add_u32 v11, v0, 1, v10
	s_lshl_b32 s6, s16, 1
	v_cndmask_b32_e64 v3, 0, 1, s[2:3]
	v_mov_b32_e32 v1, 0
	s_mov_b32 s23, s9
	v_lshl_add_u32 v12, s20, 1, v11
	v_cmp_eq_u32_e64 s[0:1], 0, v0
	v_add3_u32 v13, v10, s6, -2
	s_waitcnt lgkmcnt(0)
	s_mul_i32 s33, s5, s4
	s_add_i32 s18, s18, 1
	v_cmp_ne_u32_e64 s[2:3], 1, v3
	s_movk_i32 s34, 0x7fff
	v_mov_b32_e32 v14, 0x7fc0
	s_branch .LBB96_30
.LBB96_29:                              ;   in Loop: Header=BB96_30 Depth=1
	s_add_u32 s10, s10, s33
	v_mov_b32_e32 v3, s8
	s_addc_u32 s11, s11, 0
	v_mov_b32_e32 v4, s9
	v_cmp_ge_u64_e32 vcc, s[10:11], v[3:4]
	s_cbranch_vccnz .LBB96_53
.LBB96_30:                              ; =>This Loop Header: Depth=1
                                        ;     Child Loop BB96_33 Depth 2
                                        ;       Child Loop BB96_43 Depth 3
	s_and_b64 vcc, exec, s[2:3]
	s_cbranch_vccnz .LBB96_29
; %bb.31:                               ;   in Loop: Header=BB96_30 Depth=1
	v_add_co_u32_e32 v3, vcc, s10, v2
	v_mad_u64_u32 v[5:6], s[4:5], v3, s22, 0
	v_mov_b32_e32 v4, s11
	v_addc_co_u32_e32 v4, vcc, 0, v4, vcc
	v_mad_u64_u32 v[6:7], s[4:5], v4, s22, v[6:7]
	v_mov_b32_e32 v7, s15
	v_cmp_gt_u64_e64 s[4:5], s[8:9], v[3:4]
	v_lshlrev_b64 v[5:6], 1, v[5:6]
	v_cmp_le_u64_e64 s[6:7], s[8:9], v[3:4]
	v_add_co_u32_e32 v15, vcc, s14, v5
	v_addc_co_u32_e32 v16, vcc, v7, v6, vcc
	v_mov_b32_e32 v7, s13
	v_add_co_u32_e32 v17, vcc, s12, v5
	v_addc_co_u32_e32 v18, vcc, v7, v6, vcc
	s_mov_b64 s[24:25], 0
	v_mov_b32_e32 v7, s19
	s_branch .LBB96_33
.LBB96_32:                              ;   in Loop: Header=BB96_33 Depth=2
	s_or_b64 exec, exec, s[26:27]
	ds_read_u16 v7, v13
	s_add_u32 s24, s24, s16
	v_mov_b32_e32 v3, s22
	s_addc_u32 s25, s25, s17
	v_mov_b32_e32 v4, s23
	v_cmp_ge_u64_e32 vcc, s[24:25], v[3:4]
	s_waitcnt lgkmcnt(0)
	s_waitcnt vmcnt(0)
	s_barrier
	s_cbranch_vccnz .LBB96_29
.LBB96_33:                              ;   Parent Loop BB96_30 Depth=1
                                        ; =>  This Loop Header: Depth=2
                                        ;       Child Loop BB96_43 Depth 3
	v_mov_b32_e32 v3, s25
	v_add_co_u32_e32 v5, vcc, s24, v0
	v_addc_co_u32_e32 v6, vcc, 0, v3, vcc
	v_mov_b32_e32 v4, s21
	v_add_co_u32_e32 v3, vcc, s20, v5
	v_addc_co_u32_e32 v4, vcc, v6, v4, vcc
	s_and_saveexec_b64 s[26:27], s[4:5]
	s_cbranch_execz .LBB96_40
; %bb.34:                               ;   in Loop: Header=BB96_33 Depth=2
	v_cmp_gt_u64_e32 vcc, s[22:23], v[5:6]
	v_mov_b32_e32 v8, s19
	s_and_saveexec_b64 s[28:29], vcc
	s_cbranch_execz .LBB96_36
; %bb.35:                               ;   in Loop: Header=BB96_33 Depth=2
	v_lshlrev_b64 v[8:9], 1, v[5:6]
	v_add_co_u32_e32 v8, vcc, v15, v8
	v_addc_co_u32_e32 v9, vcc, v16, v9, vcc
	global_load_ushort v8, v[8:9], off
.LBB96_36:                              ;   in Loop: Header=BB96_33 Depth=2
	s_or_b64 exec, exec, s[28:29]
	v_cmp_gt_u64_e32 vcc, s[22:23], v[3:4]
	s_waitcnt vmcnt(0)
	ds_write_b16 v11, v8
	v_mov_b32_e32 v8, s19
	s_and_saveexec_b64 s[28:29], vcc
	s_cbranch_execz .LBB96_38
; %bb.37:                               ;   in Loop: Header=BB96_33 Depth=2
	v_lshlrev_b64 v[8:9], 1, v[3:4]
	v_add_co_u32_e32 v8, vcc, v15, v8
	v_addc_co_u32_e32 v9, vcc, v16, v9, vcc
	global_load_ushort v8, v[8:9], off
.LBB96_38:                              ;   in Loop: Header=BB96_33 Depth=2
	s_or_b64 exec, exec, s[28:29]
	s_waitcnt vmcnt(0)
	ds_write_b16 v12, v8
	s_and_b64 exec, exec, s[0:1]
	s_cbranch_execz .LBB96_40
; %bb.39:                               ;   in Loop: Header=BB96_33 Depth=2
	ds_read_u16 v8, v10
	v_lshlrev_b32_e32 v7, 16, v7
	s_waitcnt lgkmcnt(0)
	v_lshlrev_b32_e32 v8, 16, v8
	v_mul_f32_e32 v7, v7, v8
	v_bfe_u32 v8, v7, 16, 1
	v_cmp_o_f32_e32 vcc, v7, v7
	v_add3_u32 v7, v7, v8, s34
	v_cndmask_b32_sdwa v7, v14, v7, vcc dst_sel:DWORD dst_unused:UNUSED_PAD src0_sel:DWORD src1_sel:WORD_1
	ds_write_b16 v10, v7
.LBB96_40:                              ;   in Loop: Header=BB96_33 Depth=2
	s_or_b64 exec, exec, s[26:27]
	v_mov_b32_e32 v20, 0
	s_mov_b64 s[26:27], 0
	s_waitcnt lgkmcnt(0)
	s_barrier
	s_branch .LBB96_43
.LBB96_41:                              ;   in Loop: Header=BB96_43 Depth=3
	s_or_b64 exec, exec, s[30:31]
	v_lshrrev_b32_e32 v9, v20, v0
	v_lshl_or_b32 v7, v9, v19, v7
	v_lshl_add_u32 v7, v7, 1, v10
	v_lshl_add_u32 v8, v8, 1, v7
	v_add_u32_e32 v7, -2, v7
	ds_read_u16 v7, v7
	ds_read_u16 v9, v8
	s_waitcnt lgkmcnt(1)
	v_lshlrev_b32_e32 v7, 16, v7
	s_waitcnt lgkmcnt(0)
	v_lshlrev_b32_e32 v9, 16, v9
	v_mul_f32_e32 v7, v9, v7
	v_bfe_u32 v9, v7, 16, 1
	v_cmp_o_f32_e32 vcc, v7, v7
	v_add3_u32 v7, v7, v9, s34
	v_cndmask_b32_sdwa v7, v14, v7, vcc dst_sel:DWORD dst_unused:UNUSED_PAD src0_sel:DWORD src1_sel:WORD_1
	ds_write_b16 v8, v7
.LBB96_42:                              ;   in Loop: Header=BB96_43 Depth=3
	s_or_b64 exec, exec, s[28:29]
	v_cmp_eq_u32_e32 vcc, s18, v19
	s_or_b64 s[26:27], vcc, s[26:27]
	v_mov_b32_e32 v20, v19
	s_waitcnt lgkmcnt(0)
	s_barrier
	s_andn2_b64 exec, exec, s[26:27]
	s_cbranch_execz .LBB96_48
.LBB96_43:                              ;   Parent Loop BB96_30 Depth=1
                                        ;     Parent Loop BB96_33 Depth=2
                                        ; =>    This Inner Loop Header: Depth=3
	v_add_u32_e32 v19, 1, v20
	s_and_saveexec_b64 s[28:29], s[6:7]
	s_xor_b64 s[28:29], exec, s[28:29]
; %bb.44:                               ;   in Loop: Header=BB96_43 Depth=3
	v_add_u32_e32 v19, 1, v20
                                        ; implicit-def: $vgpr20
; %bb.45:                               ;   in Loop: Header=BB96_43 Depth=3
	s_andn2_saveexec_b64 s[28:29], s[28:29]
	s_cbranch_execz .LBB96_42
; %bb.46:                               ;   in Loop: Header=BB96_43 Depth=3
	v_lshlrev_b32_e64 v7, v20, 1
	v_ashrrev_i32_e32 v8, 31, v7
	v_cmp_ge_u64_e32 vcc, v[0:1], v[7:8]
	v_mov_b32_e32 v9, v1
	v_mov_b32_e32 v8, v0
	s_and_saveexec_b64 s[30:31], vcc
	s_cbranch_execz .LBB96_41
; %bb.47:                               ;   in Loop: Header=BB96_43 Depth=3
	v_cvt_f32_u32_e32 v8, v7
	v_sub_u32_e32 v9, 0, v7
	v_rcp_iflag_f32_e32 v8, v8
	v_mul_f32_e32 v8, 0x4f7ffffe, v8
	v_cvt_u32_f32_e32 v8, v8
	v_mul_lo_u32 v9, v9, v8
	v_mul_hi_u32 v9, v8, v9
	v_add_u32_e32 v8, v8, v9
	v_mul_hi_u32 v8, v0, v8
	v_mul_lo_u32 v8, v8, v7
	v_sub_u32_e32 v8, v0, v8
	v_sub_u32_e32 v9, v8, v7
	v_cmp_ge_u32_e32 vcc, v8, v7
	v_cndmask_b32_e32 v8, v8, v9, vcc
	v_sub_u32_e32 v9, v8, v7
	v_cmp_ge_u32_e32 vcc, v8, v7
	v_cndmask_b32_e32 v8, v8, v9, vcc
	s_branch .LBB96_41
.LBB96_48:                              ;   in Loop: Header=BB96_33 Depth=2
	s_or_b64 exec, exec, s[26:27]
	s_and_saveexec_b64 s[26:27], s[4:5]
	s_cbranch_execz .LBB96_32
; %bb.49:                               ;   in Loop: Header=BB96_33 Depth=2
	v_cmp_gt_u64_e32 vcc, s[22:23], v[5:6]
	s_and_saveexec_b64 s[28:29], vcc
	s_cbranch_execz .LBB96_51
; %bb.50:                               ;   in Loop: Header=BB96_33 Depth=2
	ds_read_u16 v7, v11
	v_lshlrev_b64 v[5:6], 1, v[5:6]
	v_add_co_u32_e32 v5, vcc, v17, v5
	v_addc_co_u32_e32 v6, vcc, v18, v6, vcc
	s_waitcnt lgkmcnt(0)
	global_store_short v[5:6], v7, off
.LBB96_51:                              ;   in Loop: Header=BB96_33 Depth=2
	s_or_b64 exec, exec, s[28:29]
	v_cmp_gt_u64_e32 vcc, s[22:23], v[3:4]
	s_and_b64 exec, exec, vcc
	s_cbranch_execz .LBB96_32
; %bb.52:                               ;   in Loop: Header=BB96_33 Depth=2
	ds_read_u16 v5, v12
	v_lshlrev_b64 v[3:4], 1, v[3:4]
	v_add_co_u32_e32 v3, vcc, v17, v3
	v_addc_co_u32_e32 v4, vcc, v18, v4, vcc
	s_waitcnt lgkmcnt(0)
	global_store_short v[3:4], v5, off
	s_branch .LBB96_32
.LBB96_53:
	s_endpgm
	.section	.rodata,"a",@progbits
	.p2align	6, 0x0
	.amdhsa_kernel _ZN2at6native32tensor_kernel_scan_innermost_dimIN3c108BFloat16ESt10multipliesIS3_EEEvPT_PKS6_jjjS6_T0_
		.amdhsa_group_segment_fixed_size 0
		.amdhsa_private_segment_fixed_size 0
		.amdhsa_kernarg_size 288
		.amdhsa_user_sgpr_count 6
		.amdhsa_user_sgpr_private_segment_buffer 1
		.amdhsa_user_sgpr_dispatch_ptr 0
		.amdhsa_user_sgpr_queue_ptr 0
		.amdhsa_user_sgpr_kernarg_segment_ptr 1
		.amdhsa_user_sgpr_dispatch_id 0
		.amdhsa_user_sgpr_flat_scratch_init 0
		.amdhsa_user_sgpr_private_segment_size 0
		.amdhsa_uses_dynamic_stack 0
		.amdhsa_system_sgpr_private_segment_wavefront_offset 0
		.amdhsa_system_sgpr_workgroup_id_x 1
		.amdhsa_system_sgpr_workgroup_id_y 0
		.amdhsa_system_sgpr_workgroup_id_z 0
		.amdhsa_system_sgpr_workgroup_info 0
		.amdhsa_system_vgpr_workitem_id 1
		.amdhsa_next_free_vgpr 21
		.amdhsa_next_free_sgpr 35
		.amdhsa_reserve_vcc 1
		.amdhsa_reserve_flat_scratch 0
		.amdhsa_float_round_mode_32 0
		.amdhsa_float_round_mode_16_64 0
		.amdhsa_float_denorm_mode_32 3
		.amdhsa_float_denorm_mode_16_64 3
		.amdhsa_dx10_clamp 1
		.amdhsa_ieee_mode 1
		.amdhsa_fp16_overflow 0
		.amdhsa_exception_fp_ieee_invalid_op 0
		.amdhsa_exception_fp_denorm_src 0
		.amdhsa_exception_fp_ieee_div_zero 0
		.amdhsa_exception_fp_ieee_overflow 0
		.amdhsa_exception_fp_ieee_underflow 0
		.amdhsa_exception_fp_ieee_inexact 0
		.amdhsa_exception_int_div_zero 0
	.end_amdhsa_kernel
	.section	.text._ZN2at6native32tensor_kernel_scan_innermost_dimIN3c108BFloat16ESt10multipliesIS3_EEEvPT_PKS6_jjjS6_T0_,"axG",@progbits,_ZN2at6native32tensor_kernel_scan_innermost_dimIN3c108BFloat16ESt10multipliesIS3_EEEvPT_PKS6_jjjS6_T0_,comdat
.Lfunc_end96:
	.size	_ZN2at6native32tensor_kernel_scan_innermost_dimIN3c108BFloat16ESt10multipliesIS3_EEEvPT_PKS6_jjjS6_T0_, .Lfunc_end96-_ZN2at6native32tensor_kernel_scan_innermost_dimIN3c108BFloat16ESt10multipliesIS3_EEEvPT_PKS6_jjjS6_T0_
                                        ; -- End function
	.set _ZN2at6native32tensor_kernel_scan_innermost_dimIN3c108BFloat16ESt10multipliesIS3_EEEvPT_PKS6_jjjS6_T0_.num_vgpr, 21
	.set _ZN2at6native32tensor_kernel_scan_innermost_dimIN3c108BFloat16ESt10multipliesIS3_EEEvPT_PKS6_jjjS6_T0_.num_agpr, 0
	.set _ZN2at6native32tensor_kernel_scan_innermost_dimIN3c108BFloat16ESt10multipliesIS3_EEEvPT_PKS6_jjjS6_T0_.numbered_sgpr, 35
	.set _ZN2at6native32tensor_kernel_scan_innermost_dimIN3c108BFloat16ESt10multipliesIS3_EEEvPT_PKS6_jjjS6_T0_.num_named_barrier, 0
	.set _ZN2at6native32tensor_kernel_scan_innermost_dimIN3c108BFloat16ESt10multipliesIS3_EEEvPT_PKS6_jjjS6_T0_.private_seg_size, 0
	.set _ZN2at6native32tensor_kernel_scan_innermost_dimIN3c108BFloat16ESt10multipliesIS3_EEEvPT_PKS6_jjjS6_T0_.uses_vcc, 1
	.set _ZN2at6native32tensor_kernel_scan_innermost_dimIN3c108BFloat16ESt10multipliesIS3_EEEvPT_PKS6_jjjS6_T0_.uses_flat_scratch, 0
	.set _ZN2at6native32tensor_kernel_scan_innermost_dimIN3c108BFloat16ESt10multipliesIS3_EEEvPT_PKS6_jjjS6_T0_.has_dyn_sized_stack, 0
	.set _ZN2at6native32tensor_kernel_scan_innermost_dimIN3c108BFloat16ESt10multipliesIS3_EEEvPT_PKS6_jjjS6_T0_.has_recursion, 0
	.set _ZN2at6native32tensor_kernel_scan_innermost_dimIN3c108BFloat16ESt10multipliesIS3_EEEvPT_PKS6_jjjS6_T0_.has_indirect_call, 0
	.section	.AMDGPU.csdata,"",@progbits
; Kernel info:
; codeLenInByte = 1852
; TotalNumSgprs: 39
; NumVgprs: 21
; ScratchSize: 0
; MemoryBound: 0
; FloatMode: 240
; IeeeMode: 1
; LDSByteSize: 0 bytes/workgroup (compile time only)
; SGPRBlocks: 4
; VGPRBlocks: 5
; NumSGPRsForWavesPerEU: 39
; NumVGPRsForWavesPerEU: 21
; Occupancy: 10
; WaveLimiterHint : 0
; COMPUTE_PGM_RSRC2:SCRATCH_EN: 0
; COMPUTE_PGM_RSRC2:USER_SGPR: 6
; COMPUTE_PGM_RSRC2:TRAP_HANDLER: 0
; COMPUTE_PGM_RSRC2:TGID_X_EN: 1
; COMPUTE_PGM_RSRC2:TGID_Y_EN: 0
; COMPUTE_PGM_RSRC2:TGID_Z_EN: 0
; COMPUTE_PGM_RSRC2:TIDIG_COMP_CNT: 1
	.section	.text._ZN2at6native28tensor_kernel_scan_outer_dimIN3c108BFloat16EjSt10multipliesIS3_EEEvPT_PKS6_jjjS6_T1_,"axG",@progbits,_ZN2at6native28tensor_kernel_scan_outer_dimIN3c108BFloat16EjSt10multipliesIS3_EEEvPT_PKS6_jjjS6_T1_,comdat
	.protected	_ZN2at6native28tensor_kernel_scan_outer_dimIN3c108BFloat16EjSt10multipliesIS3_EEEvPT_PKS6_jjjS6_T1_ ; -- Begin function _ZN2at6native28tensor_kernel_scan_outer_dimIN3c108BFloat16EjSt10multipliesIS3_EEEvPT_PKS6_jjjS6_T1_
	.globl	_ZN2at6native28tensor_kernel_scan_outer_dimIN3c108BFloat16EjSt10multipliesIS3_EEEvPT_PKS6_jjjS6_T1_
	.p2align	8
	.type	_ZN2at6native28tensor_kernel_scan_outer_dimIN3c108BFloat16EjSt10multipliesIS3_EEEvPT_PKS6_jjjS6_T1_,@function
_ZN2at6native28tensor_kernel_scan_outer_dimIN3c108BFloat16EjSt10multipliesIS3_EEEvPT_PKS6_jjjS6_T1_: ; @_ZN2at6native28tensor_kernel_scan_outer_dimIN3c108BFloat16EjSt10multipliesIS3_EEEvPT_PKS6_jjjS6_T1_
; %bb.0:
	s_load_dwordx4 s[8:11], s[4:5], 0x10
	s_waitcnt lgkmcnt(0)
	s_cmp_ge_u32 s6, s8
	s_cbranch_scc1 .LBB97_9
; %bb.1:
	s_load_dword s0, s[4:5], 0x2c
	s_load_dwordx4 s[12:15], s[4:5], 0x0
	s_load_dword s28, s[4:5], 0x20
	s_add_u32 s16, s4, 32
	s_addc_u32 s17, s5, 0
	s_waitcnt lgkmcnt(0)
	s_and_b32 s29, s0, 0xffff
	s_cmp_lg_u32 s10, 0
	s_mul_i32 s7, s7, s29
	s_cselect_b64 s[2:3], -1, 0
	s_mul_i32 s4, s6, s10
	v_add_u32_e32 v2, s7, v0
	s_mov_b32 s19, 0
	s_mov_b32 s18, s9
	s_mul_i32 s4, s4, s9
	s_mul_i32 s7, s28, s10
	v_cndmask_b32_e64 v0, 0, 1, s[2:3]
	v_cmp_gt_u32_e64 s[0:1], s9, v2
	s_mul_i32 s7, s7, s9
	s_lshl_b64 s[20:21], s[18:19], 1
	v_cmp_ne_u32_e64 s[2:3], 1, v0
	v_mov_b32_e32 v1, 0
	s_movk_i32 s30, 0x7fff
	v_mov_b32_e32 v3, 0x7fc0
	s_mov_b32 s18, s4
	s_branch .LBB97_3
.LBB97_2:                               ;   in Loop: Header=BB97_3 Depth=1
	s_or_b64 exec, exec, s[22:23]
	s_add_i32 s6, s28, s6
	s_add_i32 s18, s18, s7
	s_cmp_ge_u32 s6, s8
	s_cbranch_scc1 .LBB97_9
.LBB97_3:                               ; =>This Loop Header: Depth=1
                                        ;     Child Loop BB97_6 Depth 2
                                        ;       Child Loop BB97_8 Depth 3
	s_and_saveexec_b64 s[22:23], s[0:1]
	s_cbranch_execz .LBB97_2
; %bb.4:                                ;   in Loop: Header=BB97_3 Depth=1
	s_load_dword s31, s[16:17], 0x4
	s_lshl_b64 s[24:25], s[18:19], 1
	s_mov_b64 s[26:27], 0
	v_mov_b32_e32 v0, v2
	s_waitcnt lgkmcnt(0)
	s_mul_i32 s31, s31, s29
	s_branch .LBB97_6
.LBB97_5:                               ;   in Loop: Header=BB97_6 Depth=2
	v_add_u32_e32 v0, s31, v0
	v_cmp_le_u32_e32 vcc, s9, v0
	s_or_b64 s[26:27], vcc, s[26:27]
	s_andn2_b64 exec, exec, s[26:27]
	s_cbranch_execz .LBB97_2
.LBB97_6:                               ;   Parent Loop BB97_3 Depth=1
                                        ; =>  This Loop Header: Depth=2
                                        ;       Child Loop BB97_8 Depth 3
	s_and_b64 vcc, exec, s[2:3]
	s_cbranch_vccnz .LBB97_5
; %bb.7:                                ;   in Loop: Header=BB97_6 Depth=2
	v_lshlrev_b64 v[4:5], 1, v[0:1]
	v_mov_b32_e32 v6, s25
	v_add_co_u32_e32 v4, vcc, s24, v4
	v_addc_co_u32_e32 v5, vcc, v6, v5, vcc
	v_mov_b32_e32 v6, s11
	s_mov_b32 s33, s10
.LBB97_8:                               ;   Parent Loop BB97_3 Depth=1
                                        ;     Parent Loop BB97_6 Depth=2
                                        ; =>    This Inner Loop Header: Depth=3
	v_mov_b32_e32 v8, s15
	v_add_co_u32_e32 v7, vcc, s14, v4
	v_addc_co_u32_e32 v8, vcc, v8, v5, vcc
	global_load_ushort v9, v[7:8], off
	v_lshlrev_b32_e32 v6, 16, v6
	v_mov_b32_e32 v8, s13
	v_add_co_u32_e32 v7, vcc, s12, v4
	v_mov_b32_e32 v10, s21
	v_add_co_u32_e64 v4, s[4:5], s20, v4
	v_addc_co_u32_e32 v8, vcc, v8, v5, vcc
	v_addc_co_u32_e64 v5, vcc, v5, v10, s[4:5]
	s_add_i32 s33, s33, -1
	s_cmp_eq_u32 s33, 0
	s_waitcnt vmcnt(0)
	v_lshlrev_b32_e32 v9, 16, v9
	v_mul_f32_e32 v6, v6, v9
	v_bfe_u32 v9, v6, 16, 1
	v_cmp_o_f32_e32 vcc, v6, v6
	v_add3_u32 v6, v6, v9, s30
	v_cndmask_b32_sdwa v6, v3, v6, vcc dst_sel:DWORD dst_unused:UNUSED_PAD src0_sel:DWORD src1_sel:WORD_1
	global_store_short v[7:8], v6, off
	s_cbranch_scc0 .LBB97_8
	s_branch .LBB97_5
.LBB97_9:
	s_endpgm
	.section	.rodata,"a",@progbits
	.p2align	6, 0x0
	.amdhsa_kernel _ZN2at6native28tensor_kernel_scan_outer_dimIN3c108BFloat16EjSt10multipliesIS3_EEEvPT_PKS6_jjjS6_T1_
		.amdhsa_group_segment_fixed_size 0
		.amdhsa_private_segment_fixed_size 0
		.amdhsa_kernarg_size 288
		.amdhsa_user_sgpr_count 6
		.amdhsa_user_sgpr_private_segment_buffer 1
		.amdhsa_user_sgpr_dispatch_ptr 0
		.amdhsa_user_sgpr_queue_ptr 0
		.amdhsa_user_sgpr_kernarg_segment_ptr 1
		.amdhsa_user_sgpr_dispatch_id 0
		.amdhsa_user_sgpr_flat_scratch_init 0
		.amdhsa_user_sgpr_private_segment_size 0
		.amdhsa_uses_dynamic_stack 0
		.amdhsa_system_sgpr_private_segment_wavefront_offset 0
		.amdhsa_system_sgpr_workgroup_id_x 1
		.amdhsa_system_sgpr_workgroup_id_y 1
		.amdhsa_system_sgpr_workgroup_id_z 0
		.amdhsa_system_sgpr_workgroup_info 0
		.amdhsa_system_vgpr_workitem_id 0
		.amdhsa_next_free_vgpr 11
		.amdhsa_next_free_sgpr 34
		.amdhsa_reserve_vcc 1
		.amdhsa_reserve_flat_scratch 0
		.amdhsa_float_round_mode_32 0
		.amdhsa_float_round_mode_16_64 0
		.amdhsa_float_denorm_mode_32 3
		.amdhsa_float_denorm_mode_16_64 3
		.amdhsa_dx10_clamp 1
		.amdhsa_ieee_mode 1
		.amdhsa_fp16_overflow 0
		.amdhsa_exception_fp_ieee_invalid_op 0
		.amdhsa_exception_fp_denorm_src 0
		.amdhsa_exception_fp_ieee_div_zero 0
		.amdhsa_exception_fp_ieee_overflow 0
		.amdhsa_exception_fp_ieee_underflow 0
		.amdhsa_exception_fp_ieee_inexact 0
		.amdhsa_exception_int_div_zero 0
	.end_amdhsa_kernel
	.section	.text._ZN2at6native28tensor_kernel_scan_outer_dimIN3c108BFloat16EjSt10multipliesIS3_EEEvPT_PKS6_jjjS6_T1_,"axG",@progbits,_ZN2at6native28tensor_kernel_scan_outer_dimIN3c108BFloat16EjSt10multipliesIS3_EEEvPT_PKS6_jjjS6_T1_,comdat
.Lfunc_end97:
	.size	_ZN2at6native28tensor_kernel_scan_outer_dimIN3c108BFloat16EjSt10multipliesIS3_EEEvPT_PKS6_jjjS6_T1_, .Lfunc_end97-_ZN2at6native28tensor_kernel_scan_outer_dimIN3c108BFloat16EjSt10multipliesIS3_EEEvPT_PKS6_jjjS6_T1_
                                        ; -- End function
	.set _ZN2at6native28tensor_kernel_scan_outer_dimIN3c108BFloat16EjSt10multipliesIS3_EEEvPT_PKS6_jjjS6_T1_.num_vgpr, 11
	.set _ZN2at6native28tensor_kernel_scan_outer_dimIN3c108BFloat16EjSt10multipliesIS3_EEEvPT_PKS6_jjjS6_T1_.num_agpr, 0
	.set _ZN2at6native28tensor_kernel_scan_outer_dimIN3c108BFloat16EjSt10multipliesIS3_EEEvPT_PKS6_jjjS6_T1_.numbered_sgpr, 34
	.set _ZN2at6native28tensor_kernel_scan_outer_dimIN3c108BFloat16EjSt10multipliesIS3_EEEvPT_PKS6_jjjS6_T1_.num_named_barrier, 0
	.set _ZN2at6native28tensor_kernel_scan_outer_dimIN3c108BFloat16EjSt10multipliesIS3_EEEvPT_PKS6_jjjS6_T1_.private_seg_size, 0
	.set _ZN2at6native28tensor_kernel_scan_outer_dimIN3c108BFloat16EjSt10multipliesIS3_EEEvPT_PKS6_jjjS6_T1_.uses_vcc, 1
	.set _ZN2at6native28tensor_kernel_scan_outer_dimIN3c108BFloat16EjSt10multipliesIS3_EEEvPT_PKS6_jjjS6_T1_.uses_flat_scratch, 0
	.set _ZN2at6native28tensor_kernel_scan_outer_dimIN3c108BFloat16EjSt10multipliesIS3_EEEvPT_PKS6_jjjS6_T1_.has_dyn_sized_stack, 0
	.set _ZN2at6native28tensor_kernel_scan_outer_dimIN3c108BFloat16EjSt10multipliesIS3_EEEvPT_PKS6_jjjS6_T1_.has_recursion, 0
	.set _ZN2at6native28tensor_kernel_scan_outer_dimIN3c108BFloat16EjSt10multipliesIS3_EEEvPT_PKS6_jjjS6_T1_.has_indirect_call, 0
	.section	.AMDGPU.csdata,"",@progbits
; Kernel info:
; codeLenInByte = 396
; TotalNumSgprs: 38
; NumVgprs: 11
; ScratchSize: 0
; MemoryBound: 0
; FloatMode: 240
; IeeeMode: 1
; LDSByteSize: 0 bytes/workgroup (compile time only)
; SGPRBlocks: 4
; VGPRBlocks: 2
; NumSGPRsForWavesPerEU: 38
; NumVGPRsForWavesPerEU: 11
; Occupancy: 10
; WaveLimiterHint : 0
; COMPUTE_PGM_RSRC2:SCRATCH_EN: 0
; COMPUTE_PGM_RSRC2:USER_SGPR: 6
; COMPUTE_PGM_RSRC2:TRAP_HANDLER: 0
; COMPUTE_PGM_RSRC2:TGID_X_EN: 1
; COMPUTE_PGM_RSRC2:TGID_Y_EN: 1
; COMPUTE_PGM_RSRC2:TGID_Z_EN: 0
; COMPUTE_PGM_RSRC2:TIDIG_COMP_CNT: 0
	.section	.text._ZN2at6native28tensor_kernel_scan_outer_dimIN3c108BFloat16EmSt10multipliesIS3_EEEvPT_PKS6_jjjS6_T1_,"axG",@progbits,_ZN2at6native28tensor_kernel_scan_outer_dimIN3c108BFloat16EmSt10multipliesIS3_EEEvPT_PKS6_jjjS6_T1_,comdat
	.protected	_ZN2at6native28tensor_kernel_scan_outer_dimIN3c108BFloat16EmSt10multipliesIS3_EEEvPT_PKS6_jjjS6_T1_ ; -- Begin function _ZN2at6native28tensor_kernel_scan_outer_dimIN3c108BFloat16EmSt10multipliesIS3_EEEvPT_PKS6_jjjS6_T1_
	.globl	_ZN2at6native28tensor_kernel_scan_outer_dimIN3c108BFloat16EmSt10multipliesIS3_EEEvPT_PKS6_jjjS6_T1_
	.p2align	8
	.type	_ZN2at6native28tensor_kernel_scan_outer_dimIN3c108BFloat16EmSt10multipliesIS3_EEEvPT_PKS6_jjjS6_T1_,@function
_ZN2at6native28tensor_kernel_scan_outer_dimIN3c108BFloat16EmSt10multipliesIS3_EEEvPT_PKS6_jjjS6_T1_: ; @_ZN2at6native28tensor_kernel_scan_outer_dimIN3c108BFloat16EmSt10multipliesIS3_EEEvPT_PKS6_jjjS6_T1_
; %bb.0:
	s_load_dwordx4 s[8:11], s[4:5], 0x10
	s_waitcnt lgkmcnt(0)
	s_cmp_ge_u32 s6, s8
	s_cbranch_scc1 .LBB98_9
; %bb.1:
	s_load_dword s0, s[4:5], 0x2c
	s_load_dwordx4 s[12:15], s[4:5], 0x0
	s_load_dword s26, s[4:5], 0x20
	s_add_u32 s16, s4, 32
	s_addc_u32 s17, s5, 0
	s_waitcnt lgkmcnt(0)
	s_and_b32 s27, s0, 0xffff
	s_cmp_lg_u32 s10, 0
	s_mul_i32 s7, s7, s27
	s_cselect_b64 s[4:5], -1, 0
	v_add_u32_e32 v2, s7, v0
	s_mov_b32 s3, 0
	s_mov_b32 s2, s9
	s_mul_hi_u32 s19, s10, s9
	s_mul_i32 s18, s10, s9
	v_cndmask_b32_e64 v0, 0, 1, s[4:5]
	v_cmp_gt_u32_e64 s[0:1], s9, v2
	s_lshl_b64 s[18:19], s[18:19], 1
	s_lshl_b64 s[20:21], s[2:3], 1
	v_cmp_ne_u32_e64 s[2:3], 1, v0
	v_mov_b32_e32 v1, 0
	s_movk_i32 s7, 0x7fff
	v_mov_b32_e32 v3, 0x7fc0
	s_branch .LBB98_3
.LBB98_2:                               ;   in Loop: Header=BB98_3 Depth=1
	s_or_b64 exec, exec, s[22:23]
	s_add_i32 s6, s6, s26
	s_cmp_ge_u32 s6, s8
	s_cbranch_scc1 .LBB98_9
.LBB98_3:                               ; =>This Loop Header: Depth=1
                                        ;     Child Loop BB98_6 Depth 2
                                        ;       Child Loop BB98_8 Depth 3
	s_and_saveexec_b64 s[22:23], s[0:1]
	s_cbranch_execz .LBB98_2
; %bb.4:                                ;   in Loop: Header=BB98_3 Depth=1
	s_load_dword s30, s[16:17], 0x4
	s_mul_i32 s4, s19, s6
	s_mul_hi_u32 s5, s18, s6
	s_mul_i32 s28, s18, s6
	s_add_i32 s29, s5, s4
	s_waitcnt lgkmcnt(0)
	s_mul_i32 s30, s30, s27
	s_mov_b64 s[24:25], 0
	v_mov_b32_e32 v0, v2
	s_branch .LBB98_6
.LBB98_5:                               ;   in Loop: Header=BB98_6 Depth=2
	v_add_u32_e32 v0, s30, v0
	v_cmp_le_u32_e32 vcc, s9, v0
	s_or_b64 s[24:25], vcc, s[24:25]
	s_andn2_b64 exec, exec, s[24:25]
	s_cbranch_execz .LBB98_2
.LBB98_6:                               ;   Parent Loop BB98_3 Depth=1
                                        ; =>  This Loop Header: Depth=2
                                        ;       Child Loop BB98_8 Depth 3
	s_and_b64 vcc, exec, s[2:3]
	s_cbranch_vccnz .LBB98_5
; %bb.7:                                ;   in Loop: Header=BB98_6 Depth=2
	v_lshlrev_b64 v[4:5], 1, v[0:1]
	v_mov_b32_e32 v6, s29
	v_add_co_u32_e32 v4, vcc, s28, v4
	v_addc_co_u32_e32 v5, vcc, v6, v5, vcc
	v_mov_b32_e32 v6, s11
	s_mov_b32 s31, s10
.LBB98_8:                               ;   Parent Loop BB98_3 Depth=1
                                        ;     Parent Loop BB98_6 Depth=2
                                        ; =>    This Inner Loop Header: Depth=3
	v_mov_b32_e32 v8, s15
	v_add_co_u32_e32 v7, vcc, s14, v4
	v_addc_co_u32_e32 v8, vcc, v8, v5, vcc
	global_load_ushort v9, v[7:8], off
	v_lshlrev_b32_e32 v6, 16, v6
	v_mov_b32_e32 v8, s13
	v_add_co_u32_e32 v7, vcc, s12, v4
	v_mov_b32_e32 v10, s21
	v_add_co_u32_e64 v4, s[4:5], s20, v4
	v_addc_co_u32_e32 v8, vcc, v8, v5, vcc
	v_addc_co_u32_e64 v5, vcc, v5, v10, s[4:5]
	s_add_i32 s31, s31, -1
	s_cmp_eq_u32 s31, 0
	s_waitcnt vmcnt(0)
	v_lshlrev_b32_e32 v9, 16, v9
	v_mul_f32_e32 v6, v6, v9
	v_bfe_u32 v9, v6, 16, 1
	v_cmp_o_f32_e32 vcc, v6, v6
	v_add3_u32 v6, v6, v9, s7
	v_cndmask_b32_sdwa v6, v3, v6, vcc dst_sel:DWORD dst_unused:UNUSED_PAD src0_sel:DWORD src1_sel:WORD_1
	global_store_short v[7:8], v6, off
	s_cbranch_scc0 .LBB98_8
	s_branch .LBB98_5
.LBB98_9:
	s_endpgm
	.section	.rodata,"a",@progbits
	.p2align	6, 0x0
	.amdhsa_kernel _ZN2at6native28tensor_kernel_scan_outer_dimIN3c108BFloat16EmSt10multipliesIS3_EEEvPT_PKS6_jjjS6_T1_
		.amdhsa_group_segment_fixed_size 0
		.amdhsa_private_segment_fixed_size 0
		.amdhsa_kernarg_size 288
		.amdhsa_user_sgpr_count 6
		.amdhsa_user_sgpr_private_segment_buffer 1
		.amdhsa_user_sgpr_dispatch_ptr 0
		.amdhsa_user_sgpr_queue_ptr 0
		.amdhsa_user_sgpr_kernarg_segment_ptr 1
		.amdhsa_user_sgpr_dispatch_id 0
		.amdhsa_user_sgpr_flat_scratch_init 0
		.amdhsa_user_sgpr_private_segment_size 0
		.amdhsa_uses_dynamic_stack 0
		.amdhsa_system_sgpr_private_segment_wavefront_offset 0
		.amdhsa_system_sgpr_workgroup_id_x 1
		.amdhsa_system_sgpr_workgroup_id_y 1
		.amdhsa_system_sgpr_workgroup_id_z 0
		.amdhsa_system_sgpr_workgroup_info 0
		.amdhsa_system_vgpr_workitem_id 0
		.amdhsa_next_free_vgpr 11
		.amdhsa_next_free_sgpr 32
		.amdhsa_reserve_vcc 1
		.amdhsa_reserve_flat_scratch 0
		.amdhsa_float_round_mode_32 0
		.amdhsa_float_round_mode_16_64 0
		.amdhsa_float_denorm_mode_32 3
		.amdhsa_float_denorm_mode_16_64 3
		.amdhsa_dx10_clamp 1
		.amdhsa_ieee_mode 1
		.amdhsa_fp16_overflow 0
		.amdhsa_exception_fp_ieee_invalid_op 0
		.amdhsa_exception_fp_denorm_src 0
		.amdhsa_exception_fp_ieee_div_zero 0
		.amdhsa_exception_fp_ieee_overflow 0
		.amdhsa_exception_fp_ieee_underflow 0
		.amdhsa_exception_fp_ieee_inexact 0
		.amdhsa_exception_int_div_zero 0
	.end_amdhsa_kernel
	.section	.text._ZN2at6native28tensor_kernel_scan_outer_dimIN3c108BFloat16EmSt10multipliesIS3_EEEvPT_PKS6_jjjS6_T1_,"axG",@progbits,_ZN2at6native28tensor_kernel_scan_outer_dimIN3c108BFloat16EmSt10multipliesIS3_EEEvPT_PKS6_jjjS6_T1_,comdat
.Lfunc_end98:
	.size	_ZN2at6native28tensor_kernel_scan_outer_dimIN3c108BFloat16EmSt10multipliesIS3_EEEvPT_PKS6_jjjS6_T1_, .Lfunc_end98-_ZN2at6native28tensor_kernel_scan_outer_dimIN3c108BFloat16EmSt10multipliesIS3_EEEvPT_PKS6_jjjS6_T1_
                                        ; -- End function
	.set _ZN2at6native28tensor_kernel_scan_outer_dimIN3c108BFloat16EmSt10multipliesIS3_EEEvPT_PKS6_jjjS6_T1_.num_vgpr, 11
	.set _ZN2at6native28tensor_kernel_scan_outer_dimIN3c108BFloat16EmSt10multipliesIS3_EEEvPT_PKS6_jjjS6_T1_.num_agpr, 0
	.set _ZN2at6native28tensor_kernel_scan_outer_dimIN3c108BFloat16EmSt10multipliesIS3_EEEvPT_PKS6_jjjS6_T1_.numbered_sgpr, 32
	.set _ZN2at6native28tensor_kernel_scan_outer_dimIN3c108BFloat16EmSt10multipliesIS3_EEEvPT_PKS6_jjjS6_T1_.num_named_barrier, 0
	.set _ZN2at6native28tensor_kernel_scan_outer_dimIN3c108BFloat16EmSt10multipliesIS3_EEEvPT_PKS6_jjjS6_T1_.private_seg_size, 0
	.set _ZN2at6native28tensor_kernel_scan_outer_dimIN3c108BFloat16EmSt10multipliesIS3_EEEvPT_PKS6_jjjS6_T1_.uses_vcc, 1
	.set _ZN2at6native28tensor_kernel_scan_outer_dimIN3c108BFloat16EmSt10multipliesIS3_EEEvPT_PKS6_jjjS6_T1_.uses_flat_scratch, 0
	.set _ZN2at6native28tensor_kernel_scan_outer_dimIN3c108BFloat16EmSt10multipliesIS3_EEEvPT_PKS6_jjjS6_T1_.has_dyn_sized_stack, 0
	.set _ZN2at6native28tensor_kernel_scan_outer_dimIN3c108BFloat16EmSt10multipliesIS3_EEEvPT_PKS6_jjjS6_T1_.has_recursion, 0
	.set _ZN2at6native28tensor_kernel_scan_outer_dimIN3c108BFloat16EmSt10multipliesIS3_EEEvPT_PKS6_jjjS6_T1_.has_indirect_call, 0
	.section	.AMDGPU.csdata,"",@progbits
; Kernel info:
; codeLenInByte = 396
; TotalNumSgprs: 36
; NumVgprs: 11
; ScratchSize: 0
; MemoryBound: 0
; FloatMode: 240
; IeeeMode: 1
; LDSByteSize: 0 bytes/workgroup (compile time only)
; SGPRBlocks: 4
; VGPRBlocks: 2
; NumSGPRsForWavesPerEU: 36
; NumVGPRsForWavesPerEU: 11
; Occupancy: 10
; WaveLimiterHint : 0
; COMPUTE_PGM_RSRC2:SCRATCH_EN: 0
; COMPUTE_PGM_RSRC2:USER_SGPR: 6
; COMPUTE_PGM_RSRC2:TRAP_HANDLER: 0
; COMPUTE_PGM_RSRC2:TGID_X_EN: 1
; COMPUTE_PGM_RSRC2:TGID_Y_EN: 1
; COMPUTE_PGM_RSRC2:TGID_Z_EN: 0
; COMPUTE_PGM_RSRC2:TIDIG_COMP_CNT: 0
	.section	.AMDGPU.gpr_maximums,"",@progbits
	.set amdgpu.max_num_vgpr, 0
	.set amdgpu.max_num_agpr, 0
	.set amdgpu.max_num_sgpr, 0
	.section	.AMDGPU.csdata,"",@progbits
	.type	__hip_cuid_9402e5bb31f6d98e,@object ; @__hip_cuid_9402e5bb31f6d98e
	.section	.bss,"aw",@nobits
	.globl	__hip_cuid_9402e5bb31f6d98e
__hip_cuid_9402e5bb31f6d98e:
	.byte	0                               ; 0x0
	.size	__hip_cuid_9402e5bb31f6d98e, 1

	.ident	"AMD clang version 22.0.0git (https://github.com/RadeonOpenCompute/llvm-project roc-7.2.4 26084 f58b06dce1f9c15707c5f808fd002e18c2accf7e)"
	.section	".note.GNU-stack","",@progbits
	.addrsig
	.addrsig_sym __hip_cuid_9402e5bb31f6d98e
	.amdgpu_metadata
---
amdhsa.kernels:
  - .args:
      - .address_space:  global
        .offset:         0
        .size:           8
        .value_kind:     global_buffer
      - .offset:         8
        .size:           4
        .value_kind:     by_value
      - .offset:         12
        .size:           4
        .value_kind:     by_value
      - .address_space:  global
        .offset:         16
        .size:           8
        .value_kind:     global_buffer
      - .offset:         24
        .size:           4
        .value_kind:     hidden_block_count_x
      - .offset:         28
        .size:           4
        .value_kind:     hidden_block_count_y
      - .offset:         32
        .size:           4
        .value_kind:     hidden_block_count_z
      - .offset:         36
        .size:           2
        .value_kind:     hidden_group_size_x
      - .offset:         38
        .size:           2
        .value_kind:     hidden_group_size_y
      - .offset:         40
        .size:           2
        .value_kind:     hidden_group_size_z
      - .offset:         42
        .size:           2
        .value_kind:     hidden_remainder_x
      - .offset:         44
        .size:           2
        .value_kind:     hidden_remainder_y
      - .offset:         46
        .size:           2
        .value_kind:     hidden_remainder_z
      - .offset:         64
        .size:           8
        .value_kind:     hidden_global_offset_x
      - .offset:         72
        .size:           8
        .value_kind:     hidden_global_offset_y
      - .offset:         80
        .size:           8
        .value_kind:     hidden_global_offset_z
      - .offset:         88
        .size:           2
        .value_kind:     hidden_grid_dims
    .group_segment_fixed_size: 0
    .kernarg_segment_align: 8
    .kernarg_segment_size: 280
    .language:       OpenCL C
    .language_version:
      - 2
      - 0
    .max_flat_workgroup_size: 256
    .name:           _ZN7rocprim17ROCPRIM_304000_NS6detail31init_lookback_scan_state_kernelINS1_19lookback_scan_stateIhLb1ELb1EEEEEvT_jjPNS5_10value_typeE
    .private_segment_fixed_size: 0
    .sgpr_count:     18
    .sgpr_spill_count: 0
    .symbol:         _ZN7rocprim17ROCPRIM_304000_NS6detail31init_lookback_scan_state_kernelINS1_19lookback_scan_stateIhLb1ELb1EEEEEvT_jjPNS5_10value_typeE.kd
    .uniform_work_group_size: 1
    .uses_dynamic_stack: false
    .vgpr_count:     5
    .vgpr_spill_count: 0
    .wavefront_size: 64
  - .args:
      - .address_space:  global
        .offset:         0
        .size:           8
        .value_kind:     global_buffer
      - .offset:         8
        .size:           4
        .value_kind:     by_value
      - .offset:         12
        .size:           4
        .value_kind:     by_value
      - .address_space:  global
        .offset:         16
        .size:           8
        .value_kind:     global_buffer
      - .offset:         24
        .size:           4
        .value_kind:     hidden_block_count_x
      - .offset:         28
        .size:           4
        .value_kind:     hidden_block_count_y
      - .offset:         32
        .size:           4
        .value_kind:     hidden_block_count_z
      - .offset:         36
        .size:           2
        .value_kind:     hidden_group_size_x
      - .offset:         38
        .size:           2
        .value_kind:     hidden_group_size_y
      - .offset:         40
        .size:           2
        .value_kind:     hidden_group_size_z
      - .offset:         42
        .size:           2
        .value_kind:     hidden_remainder_x
      - .offset:         44
        .size:           2
        .value_kind:     hidden_remainder_y
      - .offset:         46
        .size:           2
        .value_kind:     hidden_remainder_z
      - .offset:         64
        .size:           8
        .value_kind:     hidden_global_offset_x
      - .offset:         72
        .size:           8
        .value_kind:     hidden_global_offset_y
      - .offset:         80
        .size:           8
        .value_kind:     hidden_global_offset_z
      - .offset:         88
        .size:           2
        .value_kind:     hidden_grid_dims
    .group_segment_fixed_size: 0
    .kernarg_segment_align: 8
    .kernarg_segment_size: 280
    .language:       OpenCL C
    .language_version:
      - 2
      - 0
    .max_flat_workgroup_size: 256
    .name:           _ZN7rocprim17ROCPRIM_304000_NS6detail31init_lookback_scan_state_kernelINS1_19lookback_scan_stateIhLb0ELb1EEEEEvT_jjPNS5_10value_typeE
    .private_segment_fixed_size: 0
    .sgpr_count:     16
    .sgpr_spill_count: 0
    .symbol:         _ZN7rocprim17ROCPRIM_304000_NS6detail31init_lookback_scan_state_kernelINS1_19lookback_scan_stateIhLb0ELb1EEEEEvT_jjPNS5_10value_typeE.kd
    .uniform_work_group_size: 1
    .uses_dynamic_stack: false
    .vgpr_count:     5
    .vgpr_spill_count: 0
    .wavefront_size: 64
  - .args:
      - .address_space:  global
        .offset:         0
        .size:           8
        .value_kind:     global_buffer
      - .address_space:  global
        .offset:         8
        .size:           8
        .value_kind:     global_buffer
      - .offset:         16
        .size:           8
        .value_kind:     by_value
      - .offset:         24
        .size:           1
        .value_kind:     by_value
      - .offset:         25
        .size:           1
        .value_kind:     by_value
      - .address_space:  global
        .offset:         32
        .size:           8
        .value_kind:     global_buffer
      - .offset:         40
        .size:           4
        .value_kind:     by_value
      - .address_space:  global
        .offset:         48
        .size:           8
        .value_kind:     global_buffer
      - .address_space:  global
        .offset:         56
        .size:           8
        .value_kind:     global_buffer
      - .offset:         64
        .size:           1
        .value_kind:     by_value
      - .offset:         65
        .size:           1
        .value_kind:     by_value
    .group_segment_fixed_size: 0
    .kernarg_segment_align: 8
    .kernarg_segment_size: 68
    .language:       OpenCL C
    .language_version:
      - 2
      - 0
    .max_flat_workgroup_size: 256
    .name:           _ZN7rocprim17ROCPRIM_304000_NS6detail20lookback_scan_kernelILNS1_25lookback_scan_determinismE0ELb0ENS1_19wrapped_scan_configINS0_14default_configEhEEPKhPhSt10multipliesIhEhhNS1_19lookback_scan_stateIhLb1ELb1EEEEEvT2_T3_mT5_T4_T7_jPT6_SK_bb
    .private_segment_fixed_size: 0
    .sgpr_count:     4
    .sgpr_spill_count: 0
    .symbol:         _ZN7rocprim17ROCPRIM_304000_NS6detail20lookback_scan_kernelILNS1_25lookback_scan_determinismE0ELb0ENS1_19wrapped_scan_configINS0_14default_configEhEEPKhPhSt10multipliesIhEhhNS1_19lookback_scan_stateIhLb1ELb1EEEEEvT2_T3_mT5_T4_T7_jPT6_SK_bb.kd
    .uniform_work_group_size: 1
    .uses_dynamic_stack: false
    .vgpr_count:     0
    .vgpr_spill_count: 0
    .wavefront_size: 64
  - .args:
      - .address_space:  global
        .offset:         0
        .size:           8
        .value_kind:     global_buffer
      - .address_space:  global
        .offset:         8
        .size:           8
        .value_kind:     global_buffer
      - .offset:         16
        .size:           8
        .value_kind:     by_value
      - .offset:         24
        .size:           1
        .value_kind:     by_value
      - .offset:         25
        .size:           1
        .value_kind:     by_value
      - .address_space:  global
        .offset:         32
        .size:           8
        .value_kind:     global_buffer
      - .offset:         40
        .size:           4
        .value_kind:     by_value
      - .address_space:  global
        .offset:         48
        .size:           8
        .value_kind:     global_buffer
      - .address_space:  global
        .offset:         56
        .size:           8
        .value_kind:     global_buffer
      - .offset:         64
        .size:           1
        .value_kind:     by_value
      - .offset:         65
        .size:           1
        .value_kind:     by_value
    .group_segment_fixed_size: 6144
    .kernarg_segment_align: 8
    .kernarg_segment_size: 68
    .language:       OpenCL C
    .language_version:
      - 2
      - 0
    .max_flat_workgroup_size: 256
    .name:           _ZN7rocprim17ROCPRIM_304000_NS6detail20lookback_scan_kernelILNS1_25lookback_scan_determinismE0ELb0ENS1_19wrapped_scan_configINS0_14default_configEhEEPKhPhSt10multipliesIhEhhNS1_19lookback_scan_stateIhLb0ELb1EEEEEvT2_T3_mT5_T4_T7_jPT6_SK_bb
    .private_segment_fixed_size: 0
    .sgpr_count:     30
    .sgpr_spill_count: 0
    .symbol:         _ZN7rocprim17ROCPRIM_304000_NS6detail20lookback_scan_kernelILNS1_25lookback_scan_determinismE0ELb0ENS1_19wrapped_scan_configINS0_14default_configEhEEPKhPhSt10multipliesIhEhhNS1_19lookback_scan_stateIhLb0ELb1EEEEEvT2_T3_mT5_T4_T7_jPT6_SK_bb.kd
    .uniform_work_group_size: 1
    .uses_dynamic_stack: false
    .vgpr_count:     45
    .vgpr_spill_count: 0
    .wavefront_size: 64
  - .args:
      - .address_space:  global
        .offset:         0
        .size:           8
        .value_kind:     global_buffer
      - .offset:         8
        .size:           8
        .value_kind:     by_value
      - .address_space:  global
        .offset:         16
        .size:           8
        .value_kind:     global_buffer
      - .offset:         24
        .size:           1
        .value_kind:     by_value
      - .offset:         32
        .size:           4
        .value_kind:     hidden_block_count_x
      - .offset:         36
        .size:           4
        .value_kind:     hidden_block_count_y
      - .offset:         40
        .size:           4
        .value_kind:     hidden_block_count_z
      - .offset:         44
        .size:           2
        .value_kind:     hidden_group_size_x
      - .offset:         46
        .size:           2
        .value_kind:     hidden_group_size_y
      - .offset:         48
        .size:           2
        .value_kind:     hidden_group_size_z
      - .offset:         50
        .size:           2
        .value_kind:     hidden_remainder_x
      - .offset:         52
        .size:           2
        .value_kind:     hidden_remainder_y
      - .offset:         54
        .size:           2
        .value_kind:     hidden_remainder_z
      - .offset:         72
        .size:           8
        .value_kind:     hidden_global_offset_x
      - .offset:         80
        .size:           8
        .value_kind:     hidden_global_offset_y
      - .offset:         88
        .size:           8
        .value_kind:     hidden_global_offset_z
      - .offset:         96
        .size:           2
        .value_kind:     hidden_grid_dims
    .group_segment_fixed_size: 0
    .kernarg_segment_align: 8
    .kernarg_segment_size: 288
    .language:       OpenCL C
    .language_version:
      - 2
      - 0
    .max_flat_workgroup_size: 64
    .name:           _ZN7rocprim17ROCPRIM_304000_NS6detail16transform_kernelINS1_24wrapped_transform_configINS0_14default_configEhEEhPhS6_NS0_8identityIhEEEEvT1_mT2_T3_
    .private_segment_fixed_size: 0
    .sgpr_count:     42
    .sgpr_spill_count: 0
    .symbol:         _ZN7rocprim17ROCPRIM_304000_NS6detail16transform_kernelINS1_24wrapped_transform_configINS0_14default_configEhEEhPhS6_NS0_8identityIhEEEEvT1_mT2_T3_.kd
    .uniform_work_group_size: 1
    .uses_dynamic_stack: false
    .vgpr_count:     27
    .vgpr_spill_count: 0
    .wavefront_size: 64
  - .args:
      - .address_space:  global
        .offset:         0
        .size:           8
        .value_kind:     global_buffer
      - .offset:         8
        .size:           8
        .value_kind:     by_value
      - .offset:         16
        .size:           1
        .value_kind:     by_value
      - .address_space:  global
        .offset:         24
        .size:           8
        .value_kind:     global_buffer
      - .offset:         32
        .size:           1
        .value_kind:     by_value
    .group_segment_fixed_size: 6144
    .kernarg_segment_align: 8
    .kernarg_segment_size: 36
    .language:       OpenCL C
    .language_version:
      - 2
      - 0
    .max_flat_workgroup_size: 256
    .name:           _ZN7rocprim17ROCPRIM_304000_NS6detail18single_scan_kernelILb0ENS1_19wrapped_scan_configINS0_14default_configEhEEPKhPhSt10multipliesIhEhhEEvT1_mT4_T2_T3_
    .private_segment_fixed_size: 0
    .sgpr_count:     58
    .sgpr_spill_count: 0
    .symbol:         _ZN7rocprim17ROCPRIM_304000_NS6detail18single_scan_kernelILb0ENS1_19wrapped_scan_configINS0_14default_configEhEEPKhPhSt10multipliesIhEhhEEvT1_mT4_T2_T3_.kd
    .uniform_work_group_size: 1
    .uses_dynamic_stack: false
    .vgpr_count:     26
    .vgpr_spill_count: 0
    .wavefront_size: 64
  - .args:
      - .address_space:  global
        .offset:         0
        .size:           8
        .value_kind:     global_buffer
      - .address_space:  global
        .offset:         8
        .size:           8
        .value_kind:     global_buffer
      - .offset:         16
        .size:           4
        .value_kind:     by_value
      - .offset:         20
        .size:           4
        .value_kind:     by_value
      - .offset:         24
        .size:           4
        .value_kind:     by_value
      - .offset:         28
        .size:           1
        .value_kind:     by_value
      - .offset:         29
        .size:           1
        .value_kind:     by_value
      - .offset:         32
        .size:           4
        .value_kind:     hidden_block_count_x
      - .offset:         36
        .size:           4
        .value_kind:     hidden_block_count_y
      - .offset:         40
        .size:           4
        .value_kind:     hidden_block_count_z
      - .offset:         44
        .size:           2
        .value_kind:     hidden_group_size_x
      - .offset:         46
        .size:           2
        .value_kind:     hidden_group_size_y
      - .offset:         48
        .size:           2
        .value_kind:     hidden_group_size_z
      - .offset:         50
        .size:           2
        .value_kind:     hidden_remainder_x
      - .offset:         52
        .size:           2
        .value_kind:     hidden_remainder_y
      - .offset:         54
        .size:           2
        .value_kind:     hidden_remainder_z
      - .offset:         72
        .size:           8
        .value_kind:     hidden_global_offset_x
      - .offset:         80
        .size:           8
        .value_kind:     hidden_global_offset_y
      - .offset:         88
        .size:           8
        .value_kind:     hidden_global_offset_z
      - .offset:         96
        .size:           2
        .value_kind:     hidden_grid_dims
      - .offset:         152
        .size:           4
        .value_kind:     hidden_dynamic_lds_size
    .group_segment_fixed_size: 0
    .kernarg_segment_align: 8
    .kernarg_segment_size: 288
    .language:       OpenCL C
    .language_version:
      - 2
      - 0
    .max_flat_workgroup_size: 1024
    .name:           _ZN2at6native32tensor_kernel_scan_innermost_dimIhSt10multipliesIhEEEvPT_PKS4_jjjS4_T0_
    .private_segment_fixed_size: 0
    .sgpr_count:     38
    .sgpr_spill_count: 0
    .symbol:         _ZN2at6native32tensor_kernel_scan_innermost_dimIhSt10multipliesIhEEEvPT_PKS4_jjjS4_T0_.kd
    .uniform_work_group_size: 1
    .uses_dynamic_stack: false
    .vgpr_count:     19
    .vgpr_spill_count: 0
    .wavefront_size: 64
  - .args:
      - .address_space:  global
        .offset:         0
        .size:           8
        .value_kind:     global_buffer
      - .address_space:  global
        .offset:         8
        .size:           8
        .value_kind:     global_buffer
      - .offset:         16
        .size:           4
        .value_kind:     by_value
      - .offset:         20
        .size:           4
        .value_kind:     by_value
      - .offset:         24
        .size:           4
        .value_kind:     by_value
      - .offset:         28
        .size:           1
        .value_kind:     by_value
      - .offset:         29
        .size:           1
        .value_kind:     by_value
      - .offset:         32
        .size:           4
        .value_kind:     hidden_block_count_x
      - .offset:         36
        .size:           4
        .value_kind:     hidden_block_count_y
      - .offset:         40
        .size:           4
        .value_kind:     hidden_block_count_z
      - .offset:         44
        .size:           2
        .value_kind:     hidden_group_size_x
      - .offset:         46
        .size:           2
        .value_kind:     hidden_group_size_y
      - .offset:         48
        .size:           2
        .value_kind:     hidden_group_size_z
      - .offset:         50
        .size:           2
        .value_kind:     hidden_remainder_x
      - .offset:         52
        .size:           2
        .value_kind:     hidden_remainder_y
      - .offset:         54
        .size:           2
        .value_kind:     hidden_remainder_z
      - .offset:         72
        .size:           8
        .value_kind:     hidden_global_offset_x
      - .offset:         80
        .size:           8
        .value_kind:     hidden_global_offset_y
      - .offset:         88
        .size:           8
        .value_kind:     hidden_global_offset_z
      - .offset:         96
        .size:           2
        .value_kind:     hidden_grid_dims
    .group_segment_fixed_size: 0
    .kernarg_segment_align: 8
    .kernarg_segment_size: 288
    .language:       OpenCL C
    .language_version:
      - 2
      - 0
    .max_flat_workgroup_size: 1024
    .name:           _ZN2at6native28tensor_kernel_scan_outer_dimIhjSt10multipliesIhEEEvPT_PKS4_jjjS4_T1_
    .private_segment_fixed_size: 0
    .sgpr_count:     32
    .sgpr_spill_count: 0
    .symbol:         _ZN2at6native28tensor_kernel_scan_outer_dimIhjSt10multipliesIhEEEvPT_PKS4_jjjS4_T1_.kd
    .uniform_work_group_size: 1
    .uses_dynamic_stack: false
    .vgpr_count:     8
    .vgpr_spill_count: 0
    .wavefront_size: 64
  - .args:
      - .address_space:  global
        .offset:         0
        .size:           8
        .value_kind:     global_buffer
      - .address_space:  global
        .offset:         8
        .size:           8
        .value_kind:     global_buffer
      - .offset:         16
        .size:           4
        .value_kind:     by_value
      - .offset:         20
        .size:           4
        .value_kind:     by_value
      - .offset:         24
        .size:           4
        .value_kind:     by_value
      - .offset:         28
        .size:           1
        .value_kind:     by_value
      - .offset:         29
        .size:           1
        .value_kind:     by_value
      - .offset:         32
        .size:           4
        .value_kind:     hidden_block_count_x
      - .offset:         36
        .size:           4
        .value_kind:     hidden_block_count_y
      - .offset:         40
        .size:           4
        .value_kind:     hidden_block_count_z
      - .offset:         44
        .size:           2
        .value_kind:     hidden_group_size_x
      - .offset:         46
        .size:           2
        .value_kind:     hidden_group_size_y
      - .offset:         48
        .size:           2
        .value_kind:     hidden_group_size_z
      - .offset:         50
        .size:           2
        .value_kind:     hidden_remainder_x
      - .offset:         52
        .size:           2
        .value_kind:     hidden_remainder_y
      - .offset:         54
        .size:           2
        .value_kind:     hidden_remainder_z
      - .offset:         72
        .size:           8
        .value_kind:     hidden_global_offset_x
      - .offset:         80
        .size:           8
        .value_kind:     hidden_global_offset_y
      - .offset:         88
        .size:           8
        .value_kind:     hidden_global_offset_z
      - .offset:         96
        .size:           2
        .value_kind:     hidden_grid_dims
    .group_segment_fixed_size: 0
    .kernarg_segment_align: 8
    .kernarg_segment_size: 288
    .language:       OpenCL C
    .language_version:
      - 2
      - 0
    .max_flat_workgroup_size: 1024
    .name:           _ZN2at6native28tensor_kernel_scan_outer_dimIhmSt10multipliesIhEEEvPT_PKS4_jjjS4_T1_
    .private_segment_fixed_size: 0
    .sgpr_count:     34
    .sgpr_spill_count: 0
    .symbol:         _ZN2at6native28tensor_kernel_scan_outer_dimIhmSt10multipliesIhEEEvPT_PKS4_jjjS4_T1_.kd
    .uniform_work_group_size: 1
    .uses_dynamic_stack: false
    .vgpr_count:     8
    .vgpr_spill_count: 0
    .wavefront_size: 64
  - .args:
      - .address_space:  global
        .offset:         0
        .size:           8
        .value_kind:     global_buffer
      - .offset:         8
        .size:           4
        .value_kind:     by_value
      - .offset:         12
        .size:           4
        .value_kind:     by_value
      - .address_space:  global
        .offset:         16
        .size:           8
        .value_kind:     global_buffer
      - .offset:         24
        .size:           4
        .value_kind:     hidden_block_count_x
      - .offset:         28
        .size:           4
        .value_kind:     hidden_block_count_y
      - .offset:         32
        .size:           4
        .value_kind:     hidden_block_count_z
      - .offset:         36
        .size:           2
        .value_kind:     hidden_group_size_x
      - .offset:         38
        .size:           2
        .value_kind:     hidden_group_size_y
      - .offset:         40
        .size:           2
        .value_kind:     hidden_group_size_z
      - .offset:         42
        .size:           2
        .value_kind:     hidden_remainder_x
      - .offset:         44
        .size:           2
        .value_kind:     hidden_remainder_y
      - .offset:         46
        .size:           2
        .value_kind:     hidden_remainder_z
      - .offset:         64
        .size:           8
        .value_kind:     hidden_global_offset_x
      - .offset:         72
        .size:           8
        .value_kind:     hidden_global_offset_y
      - .offset:         80
        .size:           8
        .value_kind:     hidden_global_offset_z
      - .offset:         88
        .size:           2
        .value_kind:     hidden_grid_dims
    .group_segment_fixed_size: 0
    .kernarg_segment_align: 8
    .kernarg_segment_size: 280
    .language:       OpenCL C
    .language_version:
      - 2
      - 0
    .max_flat_workgroup_size: 256
    .name:           _ZN7rocprim17ROCPRIM_304000_NS6detail31init_lookback_scan_state_kernelINS1_19lookback_scan_stateIaLb1ELb1EEEEEvT_jjPNS5_10value_typeE
    .private_segment_fixed_size: 0
    .sgpr_count:     18
    .sgpr_spill_count: 0
    .symbol:         _ZN7rocprim17ROCPRIM_304000_NS6detail31init_lookback_scan_state_kernelINS1_19lookback_scan_stateIaLb1ELb1EEEEEvT_jjPNS5_10value_typeE.kd
    .uniform_work_group_size: 1
    .uses_dynamic_stack: false
    .vgpr_count:     5
    .vgpr_spill_count: 0
    .wavefront_size: 64
  - .args:
      - .address_space:  global
        .offset:         0
        .size:           8
        .value_kind:     global_buffer
      - .offset:         8
        .size:           4
        .value_kind:     by_value
      - .offset:         12
        .size:           4
        .value_kind:     by_value
      - .address_space:  global
        .offset:         16
        .size:           8
        .value_kind:     global_buffer
      - .offset:         24
        .size:           4
        .value_kind:     hidden_block_count_x
      - .offset:         28
        .size:           4
        .value_kind:     hidden_block_count_y
      - .offset:         32
        .size:           4
        .value_kind:     hidden_block_count_z
      - .offset:         36
        .size:           2
        .value_kind:     hidden_group_size_x
      - .offset:         38
        .size:           2
        .value_kind:     hidden_group_size_y
      - .offset:         40
        .size:           2
        .value_kind:     hidden_group_size_z
      - .offset:         42
        .size:           2
        .value_kind:     hidden_remainder_x
      - .offset:         44
        .size:           2
        .value_kind:     hidden_remainder_y
      - .offset:         46
        .size:           2
        .value_kind:     hidden_remainder_z
      - .offset:         64
        .size:           8
        .value_kind:     hidden_global_offset_x
      - .offset:         72
        .size:           8
        .value_kind:     hidden_global_offset_y
      - .offset:         80
        .size:           8
        .value_kind:     hidden_global_offset_z
      - .offset:         88
        .size:           2
        .value_kind:     hidden_grid_dims
    .group_segment_fixed_size: 0
    .kernarg_segment_align: 8
    .kernarg_segment_size: 280
    .language:       OpenCL C
    .language_version:
      - 2
      - 0
    .max_flat_workgroup_size: 256
    .name:           _ZN7rocprim17ROCPRIM_304000_NS6detail31init_lookback_scan_state_kernelINS1_19lookback_scan_stateIaLb0ELb1EEEEEvT_jjPNS5_10value_typeE
    .private_segment_fixed_size: 0
    .sgpr_count:     16
    .sgpr_spill_count: 0
    .symbol:         _ZN7rocprim17ROCPRIM_304000_NS6detail31init_lookback_scan_state_kernelINS1_19lookback_scan_stateIaLb0ELb1EEEEEvT_jjPNS5_10value_typeE.kd
    .uniform_work_group_size: 1
    .uses_dynamic_stack: false
    .vgpr_count:     5
    .vgpr_spill_count: 0
    .wavefront_size: 64
  - .args:
      - .address_space:  global
        .offset:         0
        .size:           8
        .value_kind:     global_buffer
      - .address_space:  global
        .offset:         8
        .size:           8
        .value_kind:     global_buffer
      - .offset:         16
        .size:           8
        .value_kind:     by_value
      - .offset:         24
        .size:           1
        .value_kind:     by_value
      - .offset:         25
        .size:           1
        .value_kind:     by_value
      - .address_space:  global
        .offset:         32
        .size:           8
        .value_kind:     global_buffer
      - .offset:         40
        .size:           4
        .value_kind:     by_value
      - .address_space:  global
        .offset:         48
        .size:           8
        .value_kind:     global_buffer
      - .address_space:  global
        .offset:         56
        .size:           8
        .value_kind:     global_buffer
      - .offset:         64
        .size:           1
        .value_kind:     by_value
      - .offset:         65
        .size:           1
        .value_kind:     by_value
    .group_segment_fixed_size: 0
    .kernarg_segment_align: 8
    .kernarg_segment_size: 68
    .language:       OpenCL C
    .language_version:
      - 2
      - 0
    .max_flat_workgroup_size: 256
    .name:           _ZN7rocprim17ROCPRIM_304000_NS6detail20lookback_scan_kernelILNS1_25lookback_scan_determinismE0ELb0ENS1_19wrapped_scan_configINS0_14default_configEaEEPKaPaSt10multipliesIaEaaNS1_19lookback_scan_stateIaLb1ELb1EEEEEvT2_T3_mT5_T4_T7_jPT6_SK_bb
    .private_segment_fixed_size: 0
    .sgpr_count:     4
    .sgpr_spill_count: 0
    .symbol:         _ZN7rocprim17ROCPRIM_304000_NS6detail20lookback_scan_kernelILNS1_25lookback_scan_determinismE0ELb0ENS1_19wrapped_scan_configINS0_14default_configEaEEPKaPaSt10multipliesIaEaaNS1_19lookback_scan_stateIaLb1ELb1EEEEEvT2_T3_mT5_T4_T7_jPT6_SK_bb.kd
    .uniform_work_group_size: 1
    .uses_dynamic_stack: false
    .vgpr_count:     0
    .vgpr_spill_count: 0
    .wavefront_size: 64
  - .args:
      - .address_space:  global
        .offset:         0
        .size:           8
        .value_kind:     global_buffer
      - .address_space:  global
        .offset:         8
        .size:           8
        .value_kind:     global_buffer
      - .offset:         16
        .size:           8
        .value_kind:     by_value
      - .offset:         24
        .size:           1
        .value_kind:     by_value
      - .offset:         25
        .size:           1
        .value_kind:     by_value
      - .address_space:  global
        .offset:         32
        .size:           8
        .value_kind:     global_buffer
      - .offset:         40
        .size:           4
        .value_kind:     by_value
      - .address_space:  global
        .offset:         48
        .size:           8
        .value_kind:     global_buffer
      - .address_space:  global
        .offset:         56
        .size:           8
        .value_kind:     global_buffer
      - .offset:         64
        .size:           1
        .value_kind:     by_value
      - .offset:         65
        .size:           1
        .value_kind:     by_value
    .group_segment_fixed_size: 6144
    .kernarg_segment_align: 8
    .kernarg_segment_size: 68
    .language:       OpenCL C
    .language_version:
      - 2
      - 0
    .max_flat_workgroup_size: 256
    .name:           _ZN7rocprim17ROCPRIM_304000_NS6detail20lookback_scan_kernelILNS1_25lookback_scan_determinismE0ELb0ENS1_19wrapped_scan_configINS0_14default_configEaEEPKaPaSt10multipliesIaEaaNS1_19lookback_scan_stateIaLb0ELb1EEEEEvT2_T3_mT5_T4_T7_jPT6_SK_bb
    .private_segment_fixed_size: 0
    .sgpr_count:     30
    .sgpr_spill_count: 0
    .symbol:         _ZN7rocprim17ROCPRIM_304000_NS6detail20lookback_scan_kernelILNS1_25lookback_scan_determinismE0ELb0ENS1_19wrapped_scan_configINS0_14default_configEaEEPKaPaSt10multipliesIaEaaNS1_19lookback_scan_stateIaLb0ELb1EEEEEvT2_T3_mT5_T4_T7_jPT6_SK_bb.kd
    .uniform_work_group_size: 1
    .uses_dynamic_stack: false
    .vgpr_count:     45
    .vgpr_spill_count: 0
    .wavefront_size: 64
  - .args:
      - .address_space:  global
        .offset:         0
        .size:           8
        .value_kind:     global_buffer
      - .offset:         8
        .size:           8
        .value_kind:     by_value
      - .address_space:  global
        .offset:         16
        .size:           8
        .value_kind:     global_buffer
      - .offset:         24
        .size:           1
        .value_kind:     by_value
      - .offset:         32
        .size:           4
        .value_kind:     hidden_block_count_x
      - .offset:         36
        .size:           4
        .value_kind:     hidden_block_count_y
      - .offset:         40
        .size:           4
        .value_kind:     hidden_block_count_z
      - .offset:         44
        .size:           2
        .value_kind:     hidden_group_size_x
      - .offset:         46
        .size:           2
        .value_kind:     hidden_group_size_y
      - .offset:         48
        .size:           2
        .value_kind:     hidden_group_size_z
      - .offset:         50
        .size:           2
        .value_kind:     hidden_remainder_x
      - .offset:         52
        .size:           2
        .value_kind:     hidden_remainder_y
      - .offset:         54
        .size:           2
        .value_kind:     hidden_remainder_z
      - .offset:         72
        .size:           8
        .value_kind:     hidden_global_offset_x
      - .offset:         80
        .size:           8
        .value_kind:     hidden_global_offset_y
      - .offset:         88
        .size:           8
        .value_kind:     hidden_global_offset_z
      - .offset:         96
        .size:           2
        .value_kind:     hidden_grid_dims
    .group_segment_fixed_size: 0
    .kernarg_segment_align: 8
    .kernarg_segment_size: 288
    .language:       OpenCL C
    .language_version:
      - 2
      - 0
    .max_flat_workgroup_size: 64
    .name:           _ZN7rocprim17ROCPRIM_304000_NS6detail16transform_kernelINS1_24wrapped_transform_configINS0_14default_configEaEEaPaS6_NS0_8identityIaEEEEvT1_mT2_T3_
    .private_segment_fixed_size: 0
    .sgpr_count:     42
    .sgpr_spill_count: 0
    .symbol:         _ZN7rocprim17ROCPRIM_304000_NS6detail16transform_kernelINS1_24wrapped_transform_configINS0_14default_configEaEEaPaS6_NS0_8identityIaEEEEvT1_mT2_T3_.kd
    .uniform_work_group_size: 1
    .uses_dynamic_stack: false
    .vgpr_count:     27
    .vgpr_spill_count: 0
    .wavefront_size: 64
  - .args:
      - .address_space:  global
        .offset:         0
        .size:           8
        .value_kind:     global_buffer
      - .offset:         8
        .size:           8
        .value_kind:     by_value
      - .offset:         16
        .size:           1
        .value_kind:     by_value
      - .address_space:  global
        .offset:         24
        .size:           8
        .value_kind:     global_buffer
      - .offset:         32
        .size:           1
        .value_kind:     by_value
    .group_segment_fixed_size: 6144
    .kernarg_segment_align: 8
    .kernarg_segment_size: 36
    .language:       OpenCL C
    .language_version:
      - 2
      - 0
    .max_flat_workgroup_size: 256
    .name:           _ZN7rocprim17ROCPRIM_304000_NS6detail18single_scan_kernelILb0ENS1_19wrapped_scan_configINS0_14default_configEaEEPKaPaSt10multipliesIaEaaEEvT1_mT4_T2_T3_
    .private_segment_fixed_size: 0
    .sgpr_count:     58
    .sgpr_spill_count: 0
    .symbol:         _ZN7rocprim17ROCPRIM_304000_NS6detail18single_scan_kernelILb0ENS1_19wrapped_scan_configINS0_14default_configEaEEPKaPaSt10multipliesIaEaaEEvT1_mT4_T2_T3_.kd
    .uniform_work_group_size: 1
    .uses_dynamic_stack: false
    .vgpr_count:     26
    .vgpr_spill_count: 0
    .wavefront_size: 64
  - .args:
      - .address_space:  global
        .offset:         0
        .size:           8
        .value_kind:     global_buffer
      - .address_space:  global
        .offset:         8
        .size:           8
        .value_kind:     global_buffer
      - .offset:         16
        .size:           4
        .value_kind:     by_value
      - .offset:         20
        .size:           4
        .value_kind:     by_value
      - .offset:         24
        .size:           4
        .value_kind:     by_value
      - .offset:         28
        .size:           1
        .value_kind:     by_value
      - .offset:         29
        .size:           1
        .value_kind:     by_value
      - .offset:         32
        .size:           4
        .value_kind:     hidden_block_count_x
      - .offset:         36
        .size:           4
        .value_kind:     hidden_block_count_y
      - .offset:         40
        .size:           4
        .value_kind:     hidden_block_count_z
      - .offset:         44
        .size:           2
        .value_kind:     hidden_group_size_x
      - .offset:         46
        .size:           2
        .value_kind:     hidden_group_size_y
      - .offset:         48
        .size:           2
        .value_kind:     hidden_group_size_z
      - .offset:         50
        .size:           2
        .value_kind:     hidden_remainder_x
      - .offset:         52
        .size:           2
        .value_kind:     hidden_remainder_y
      - .offset:         54
        .size:           2
        .value_kind:     hidden_remainder_z
      - .offset:         72
        .size:           8
        .value_kind:     hidden_global_offset_x
      - .offset:         80
        .size:           8
        .value_kind:     hidden_global_offset_y
      - .offset:         88
        .size:           8
        .value_kind:     hidden_global_offset_z
      - .offset:         96
        .size:           2
        .value_kind:     hidden_grid_dims
      - .offset:         152
        .size:           4
        .value_kind:     hidden_dynamic_lds_size
    .group_segment_fixed_size: 0
    .kernarg_segment_align: 8
    .kernarg_segment_size: 288
    .language:       OpenCL C
    .language_version:
      - 2
      - 0
    .max_flat_workgroup_size: 1024
    .name:           _ZN2at6native32tensor_kernel_scan_innermost_dimIaSt10multipliesIaEEEvPT_PKS4_jjjS4_T0_
    .private_segment_fixed_size: 0
    .sgpr_count:     38
    .sgpr_spill_count: 0
    .symbol:         _ZN2at6native32tensor_kernel_scan_innermost_dimIaSt10multipliesIaEEEvPT_PKS4_jjjS4_T0_.kd
    .uniform_work_group_size: 1
    .uses_dynamic_stack: false
    .vgpr_count:     19
    .vgpr_spill_count: 0
    .wavefront_size: 64
  - .args:
      - .address_space:  global
        .offset:         0
        .size:           8
        .value_kind:     global_buffer
      - .address_space:  global
        .offset:         8
        .size:           8
        .value_kind:     global_buffer
      - .offset:         16
        .size:           4
        .value_kind:     by_value
      - .offset:         20
        .size:           4
        .value_kind:     by_value
      - .offset:         24
        .size:           4
        .value_kind:     by_value
      - .offset:         28
        .size:           1
        .value_kind:     by_value
      - .offset:         29
        .size:           1
        .value_kind:     by_value
      - .offset:         32
        .size:           4
        .value_kind:     hidden_block_count_x
      - .offset:         36
        .size:           4
        .value_kind:     hidden_block_count_y
      - .offset:         40
        .size:           4
        .value_kind:     hidden_block_count_z
      - .offset:         44
        .size:           2
        .value_kind:     hidden_group_size_x
      - .offset:         46
        .size:           2
        .value_kind:     hidden_group_size_y
      - .offset:         48
        .size:           2
        .value_kind:     hidden_group_size_z
      - .offset:         50
        .size:           2
        .value_kind:     hidden_remainder_x
      - .offset:         52
        .size:           2
        .value_kind:     hidden_remainder_y
      - .offset:         54
        .size:           2
        .value_kind:     hidden_remainder_z
      - .offset:         72
        .size:           8
        .value_kind:     hidden_global_offset_x
      - .offset:         80
        .size:           8
        .value_kind:     hidden_global_offset_y
      - .offset:         88
        .size:           8
        .value_kind:     hidden_global_offset_z
      - .offset:         96
        .size:           2
        .value_kind:     hidden_grid_dims
    .group_segment_fixed_size: 0
    .kernarg_segment_align: 8
    .kernarg_segment_size: 288
    .language:       OpenCL C
    .language_version:
      - 2
      - 0
    .max_flat_workgroup_size: 1024
    .name:           _ZN2at6native28tensor_kernel_scan_outer_dimIajSt10multipliesIaEEEvPT_PKS4_jjjS4_T1_
    .private_segment_fixed_size: 0
    .sgpr_count:     32
    .sgpr_spill_count: 0
    .symbol:         _ZN2at6native28tensor_kernel_scan_outer_dimIajSt10multipliesIaEEEvPT_PKS4_jjjS4_T1_.kd
    .uniform_work_group_size: 1
    .uses_dynamic_stack: false
    .vgpr_count:     8
    .vgpr_spill_count: 0
    .wavefront_size: 64
  - .args:
      - .address_space:  global
        .offset:         0
        .size:           8
        .value_kind:     global_buffer
      - .address_space:  global
        .offset:         8
        .size:           8
        .value_kind:     global_buffer
      - .offset:         16
        .size:           4
        .value_kind:     by_value
      - .offset:         20
        .size:           4
        .value_kind:     by_value
      - .offset:         24
        .size:           4
        .value_kind:     by_value
      - .offset:         28
        .size:           1
        .value_kind:     by_value
      - .offset:         29
        .size:           1
        .value_kind:     by_value
      - .offset:         32
        .size:           4
        .value_kind:     hidden_block_count_x
      - .offset:         36
        .size:           4
        .value_kind:     hidden_block_count_y
      - .offset:         40
        .size:           4
        .value_kind:     hidden_block_count_z
      - .offset:         44
        .size:           2
        .value_kind:     hidden_group_size_x
      - .offset:         46
        .size:           2
        .value_kind:     hidden_group_size_y
      - .offset:         48
        .size:           2
        .value_kind:     hidden_group_size_z
      - .offset:         50
        .size:           2
        .value_kind:     hidden_remainder_x
      - .offset:         52
        .size:           2
        .value_kind:     hidden_remainder_y
      - .offset:         54
        .size:           2
        .value_kind:     hidden_remainder_z
      - .offset:         72
        .size:           8
        .value_kind:     hidden_global_offset_x
      - .offset:         80
        .size:           8
        .value_kind:     hidden_global_offset_y
      - .offset:         88
        .size:           8
        .value_kind:     hidden_global_offset_z
      - .offset:         96
        .size:           2
        .value_kind:     hidden_grid_dims
    .group_segment_fixed_size: 0
    .kernarg_segment_align: 8
    .kernarg_segment_size: 288
    .language:       OpenCL C
    .language_version:
      - 2
      - 0
    .max_flat_workgroup_size: 1024
    .name:           _ZN2at6native28tensor_kernel_scan_outer_dimIamSt10multipliesIaEEEvPT_PKS4_jjjS4_T1_
    .private_segment_fixed_size: 0
    .sgpr_count:     34
    .sgpr_spill_count: 0
    .symbol:         _ZN2at6native28tensor_kernel_scan_outer_dimIamSt10multipliesIaEEEvPT_PKS4_jjjS4_T1_.kd
    .uniform_work_group_size: 1
    .uses_dynamic_stack: false
    .vgpr_count:     8
    .vgpr_spill_count: 0
    .wavefront_size: 64
  - .args:
      - .address_space:  global
        .offset:         0
        .size:           8
        .value_kind:     global_buffer
      - .offset:         8
        .size:           4
        .value_kind:     by_value
      - .offset:         12
        .size:           4
        .value_kind:     by_value
      - .address_space:  global
        .offset:         16
        .size:           8
        .value_kind:     global_buffer
      - .offset:         24
        .size:           4
        .value_kind:     hidden_block_count_x
      - .offset:         28
        .size:           4
        .value_kind:     hidden_block_count_y
      - .offset:         32
        .size:           4
        .value_kind:     hidden_block_count_z
      - .offset:         36
        .size:           2
        .value_kind:     hidden_group_size_x
      - .offset:         38
        .size:           2
        .value_kind:     hidden_group_size_y
      - .offset:         40
        .size:           2
        .value_kind:     hidden_group_size_z
      - .offset:         42
        .size:           2
        .value_kind:     hidden_remainder_x
      - .offset:         44
        .size:           2
        .value_kind:     hidden_remainder_y
      - .offset:         46
        .size:           2
        .value_kind:     hidden_remainder_z
      - .offset:         64
        .size:           8
        .value_kind:     hidden_global_offset_x
      - .offset:         72
        .size:           8
        .value_kind:     hidden_global_offset_y
      - .offset:         80
        .size:           8
        .value_kind:     hidden_global_offset_z
      - .offset:         88
        .size:           2
        .value_kind:     hidden_grid_dims
    .group_segment_fixed_size: 0
    .kernarg_segment_align: 8
    .kernarg_segment_size: 280
    .language:       OpenCL C
    .language_version:
      - 2
      - 0
    .max_flat_workgroup_size: 256
    .name:           _ZN7rocprim17ROCPRIM_304000_NS6detail31init_lookback_scan_state_kernelINS1_19lookback_scan_stateIiLb1ELb1EEEEEvT_jjPNS5_10value_typeE
    .private_segment_fixed_size: 0
    .sgpr_count:     16
    .sgpr_spill_count: 0
    .symbol:         _ZN7rocprim17ROCPRIM_304000_NS6detail31init_lookback_scan_state_kernelINS1_19lookback_scan_stateIiLb1ELb1EEEEEvT_jjPNS5_10value_typeE.kd
    .uniform_work_group_size: 1
    .uses_dynamic_stack: false
    .vgpr_count:     6
    .vgpr_spill_count: 0
    .wavefront_size: 64
  - .args:
      - .address_space:  global
        .offset:         0
        .size:           8
        .value_kind:     global_buffer
      - .offset:         8
        .size:           4
        .value_kind:     by_value
      - .offset:         12
        .size:           4
        .value_kind:     by_value
      - .address_space:  global
        .offset:         16
        .size:           8
        .value_kind:     global_buffer
      - .offset:         24
        .size:           4
        .value_kind:     hidden_block_count_x
      - .offset:         28
        .size:           4
        .value_kind:     hidden_block_count_y
      - .offset:         32
        .size:           4
        .value_kind:     hidden_block_count_z
      - .offset:         36
        .size:           2
        .value_kind:     hidden_group_size_x
      - .offset:         38
        .size:           2
        .value_kind:     hidden_group_size_y
      - .offset:         40
        .size:           2
        .value_kind:     hidden_group_size_z
      - .offset:         42
        .size:           2
        .value_kind:     hidden_remainder_x
      - .offset:         44
        .size:           2
        .value_kind:     hidden_remainder_y
      - .offset:         46
        .size:           2
        .value_kind:     hidden_remainder_z
      - .offset:         64
        .size:           8
        .value_kind:     hidden_global_offset_x
      - .offset:         72
        .size:           8
        .value_kind:     hidden_global_offset_y
      - .offset:         80
        .size:           8
        .value_kind:     hidden_global_offset_z
      - .offset:         88
        .size:           2
        .value_kind:     hidden_grid_dims
    .group_segment_fixed_size: 0
    .kernarg_segment_align: 8
    .kernarg_segment_size: 280
    .language:       OpenCL C
    .language_version:
      - 2
      - 0
    .max_flat_workgroup_size: 256
    .name:           _ZN7rocprim17ROCPRIM_304000_NS6detail31init_lookback_scan_state_kernelINS1_19lookback_scan_stateIiLb0ELb1EEEEEvT_jjPNS5_10value_typeE
    .private_segment_fixed_size: 0
    .sgpr_count:     14
    .sgpr_spill_count: 0
    .symbol:         _ZN7rocprim17ROCPRIM_304000_NS6detail31init_lookback_scan_state_kernelINS1_19lookback_scan_stateIiLb0ELb1EEEEEvT_jjPNS5_10value_typeE.kd
    .uniform_work_group_size: 1
    .uses_dynamic_stack: false
    .vgpr_count:     6
    .vgpr_spill_count: 0
    .wavefront_size: 64
  - .args:
      - .address_space:  global
        .offset:         0
        .size:           8
        .value_kind:     global_buffer
      - .address_space:  global
        .offset:         8
        .size:           8
        .value_kind:     global_buffer
      - .offset:         16
        .size:           8
        .value_kind:     by_value
      - .offset:         24
        .size:           4
        .value_kind:     by_value
      - .offset:         28
        .size:           1
        .value_kind:     by_value
      - .address_space:  global
        .offset:         32
        .size:           8
        .value_kind:     global_buffer
      - .offset:         40
        .size:           4
        .value_kind:     by_value
      - .address_space:  global
        .offset:         48
        .size:           8
        .value_kind:     global_buffer
      - .address_space:  global
        .offset:         56
        .size:           8
        .value_kind:     global_buffer
      - .offset:         64
        .size:           1
        .value_kind:     by_value
      - .offset:         65
        .size:           1
        .value_kind:     by_value
    .group_segment_fixed_size: 0
    .kernarg_segment_align: 8
    .kernarg_segment_size: 68
    .language:       OpenCL C
    .language_version:
      - 2
      - 0
    .max_flat_workgroup_size: 256
    .name:           _ZN7rocprim17ROCPRIM_304000_NS6detail20lookback_scan_kernelILNS1_25lookback_scan_determinismE0ELb0ENS1_19wrapped_scan_configINS0_14default_configEiEEPKiPiSt10multipliesIiEiiNS1_19lookback_scan_stateIiLb1ELb1EEEEEvT2_T3_mT5_T4_T7_jPT6_SK_bb
    .private_segment_fixed_size: 0
    .sgpr_count:     4
    .sgpr_spill_count: 0
    .symbol:         _ZN7rocprim17ROCPRIM_304000_NS6detail20lookback_scan_kernelILNS1_25lookback_scan_determinismE0ELb0ENS1_19wrapped_scan_configINS0_14default_configEiEEPKiPiSt10multipliesIiEiiNS1_19lookback_scan_stateIiLb1ELb1EEEEEvT2_T3_mT5_T4_T7_jPT6_SK_bb.kd
    .uniform_work_group_size: 1
    .uses_dynamic_stack: false
    .vgpr_count:     0
    .vgpr_spill_count: 0
    .wavefront_size: 64
  - .args:
      - .address_space:  global
        .offset:         0
        .size:           8
        .value_kind:     global_buffer
      - .address_space:  global
        .offset:         8
        .size:           8
        .value_kind:     global_buffer
      - .offset:         16
        .size:           8
        .value_kind:     by_value
      - .offset:         24
        .size:           4
        .value_kind:     by_value
      - .offset:         28
        .size:           1
        .value_kind:     by_value
      - .address_space:  global
        .offset:         32
        .size:           8
        .value_kind:     global_buffer
      - .offset:         40
        .size:           4
        .value_kind:     by_value
      - .address_space:  global
        .offset:         48
        .size:           8
        .value_kind:     global_buffer
      - .address_space:  global
        .offset:         56
        .size:           8
        .value_kind:     global_buffer
      - .offset:         64
        .size:           1
        .value_kind:     by_value
      - .offset:         65
        .size:           1
        .value_kind:     by_value
    .group_segment_fixed_size: 15360
    .kernarg_segment_align: 8
    .kernarg_segment_size: 68
    .language:       OpenCL C
    .language_version:
      - 2
      - 0
    .max_flat_workgroup_size: 256
    .name:           _ZN7rocprim17ROCPRIM_304000_NS6detail20lookback_scan_kernelILNS1_25lookback_scan_determinismE0ELb0ENS1_19wrapped_scan_configINS0_14default_configEiEEPKiPiSt10multipliesIiEiiNS1_19lookback_scan_stateIiLb0ELb1EEEEEvT2_T3_mT5_T4_T7_jPT6_SK_bb
    .private_segment_fixed_size: 0
    .sgpr_count:     38
    .sgpr_spill_count: 0
    .symbol:         _ZN7rocprim17ROCPRIM_304000_NS6detail20lookback_scan_kernelILNS1_25lookback_scan_determinismE0ELb0ENS1_19wrapped_scan_configINS0_14default_configEiEEPKiPiSt10multipliesIiEiiNS1_19lookback_scan_stateIiLb0ELb1EEEEEvT2_T3_mT5_T4_T7_jPT6_SK_bb.kd
    .uniform_work_group_size: 1
    .uses_dynamic_stack: false
    .vgpr_count:     44
    .vgpr_spill_count: 0
    .wavefront_size: 64
  - .args:
      - .address_space:  global
        .offset:         0
        .size:           8
        .value_kind:     global_buffer
      - .offset:         8
        .size:           8
        .value_kind:     by_value
      - .address_space:  global
        .offset:         16
        .size:           8
        .value_kind:     global_buffer
      - .offset:         24
        .size:           1
        .value_kind:     by_value
      - .offset:         32
        .size:           4
        .value_kind:     hidden_block_count_x
      - .offset:         36
        .size:           4
        .value_kind:     hidden_block_count_y
      - .offset:         40
        .size:           4
        .value_kind:     hidden_block_count_z
      - .offset:         44
        .size:           2
        .value_kind:     hidden_group_size_x
      - .offset:         46
        .size:           2
        .value_kind:     hidden_group_size_y
      - .offset:         48
        .size:           2
        .value_kind:     hidden_group_size_z
      - .offset:         50
        .size:           2
        .value_kind:     hidden_remainder_x
      - .offset:         52
        .size:           2
        .value_kind:     hidden_remainder_y
      - .offset:         54
        .size:           2
        .value_kind:     hidden_remainder_z
      - .offset:         72
        .size:           8
        .value_kind:     hidden_global_offset_x
      - .offset:         80
        .size:           8
        .value_kind:     hidden_global_offset_y
      - .offset:         88
        .size:           8
        .value_kind:     hidden_global_offset_z
      - .offset:         96
        .size:           2
        .value_kind:     hidden_grid_dims
    .group_segment_fixed_size: 0
    .kernarg_segment_align: 8
    .kernarg_segment_size: 288
    .language:       OpenCL C
    .language_version:
      - 2
      - 0
    .max_flat_workgroup_size: 1024
    .name:           _ZN7rocprim17ROCPRIM_304000_NS6detail16transform_kernelINS1_24wrapped_transform_configINS0_14default_configEiEEiPiS6_NS0_8identityIiEEEEvT1_mT2_T3_
    .private_segment_fixed_size: 0
    .sgpr_count:     16
    .sgpr_spill_count: 0
    .symbol:         _ZN7rocprim17ROCPRIM_304000_NS6detail16transform_kernelINS1_24wrapped_transform_configINS0_14default_configEiEEiPiS6_NS0_8identityIiEEEEvT1_mT2_T3_.kd
    .uniform_work_group_size: 1
    .uses_dynamic_stack: false
    .vgpr_count:     8
    .vgpr_spill_count: 0
    .wavefront_size: 64
  - .args:
      - .address_space:  global
        .offset:         0
        .size:           8
        .value_kind:     global_buffer
      - .offset:         8
        .size:           8
        .value_kind:     by_value
      - .offset:         16
        .size:           4
        .value_kind:     by_value
      - .address_space:  global
        .offset:         24
        .size:           8
        .value_kind:     global_buffer
      - .offset:         32
        .size:           1
        .value_kind:     by_value
    .group_segment_fixed_size: 15360
    .kernarg_segment_align: 8
    .kernarg_segment_size: 36
    .language:       OpenCL C
    .language_version:
      - 2
      - 0
    .max_flat_workgroup_size: 256
    .name:           _ZN7rocprim17ROCPRIM_304000_NS6detail18single_scan_kernelILb0ENS1_19wrapped_scan_configINS0_14default_configEiEEPKiPiSt10multipliesIiEiiEEvT1_mT4_T2_T3_
    .private_segment_fixed_size: 0
    .sgpr_count:     40
    .sgpr_spill_count: 0
    .symbol:         _ZN7rocprim17ROCPRIM_304000_NS6detail18single_scan_kernelILb0ENS1_19wrapped_scan_configINS0_14default_configEiEEPKiPiSt10multipliesIiEiiEEvT1_mT4_T2_T3_.kd
    .uniform_work_group_size: 1
    .uses_dynamic_stack: false
    .vgpr_count:     40
    .vgpr_spill_count: 0
    .wavefront_size: 64
  - .args:
      - .address_space:  global
        .offset:         0
        .size:           8
        .value_kind:     global_buffer
      - .address_space:  global
        .offset:         8
        .size:           8
        .value_kind:     global_buffer
      - .offset:         16
        .size:           4
        .value_kind:     by_value
      - .offset:         20
        .size:           4
        .value_kind:     by_value
      - .offset:         24
        .size:           4
        .value_kind:     by_value
      - .offset:         28
        .size:           4
        .value_kind:     by_value
      - .offset:         32
        .size:           1
        .value_kind:     by_value
      - .offset:         40
        .size:           4
        .value_kind:     hidden_block_count_x
      - .offset:         44
        .size:           4
        .value_kind:     hidden_block_count_y
      - .offset:         48
        .size:           4
        .value_kind:     hidden_block_count_z
      - .offset:         52
        .size:           2
        .value_kind:     hidden_group_size_x
      - .offset:         54
        .size:           2
        .value_kind:     hidden_group_size_y
      - .offset:         56
        .size:           2
        .value_kind:     hidden_group_size_z
      - .offset:         58
        .size:           2
        .value_kind:     hidden_remainder_x
      - .offset:         60
        .size:           2
        .value_kind:     hidden_remainder_y
      - .offset:         62
        .size:           2
        .value_kind:     hidden_remainder_z
      - .offset:         80
        .size:           8
        .value_kind:     hidden_global_offset_x
      - .offset:         88
        .size:           8
        .value_kind:     hidden_global_offset_y
      - .offset:         96
        .size:           8
        .value_kind:     hidden_global_offset_z
      - .offset:         104
        .size:           2
        .value_kind:     hidden_grid_dims
      - .offset:         160
        .size:           4
        .value_kind:     hidden_dynamic_lds_size
    .group_segment_fixed_size: 0
    .kernarg_segment_align: 8
    .kernarg_segment_size: 296
    .language:       OpenCL C
    .language_version:
      - 2
      - 0
    .max_flat_workgroup_size: 1024
    .name:           _ZN2at6native32tensor_kernel_scan_innermost_dimIiSt10multipliesIiEEEvPT_PKS4_jjjS4_T0_
    .private_segment_fixed_size: 0
    .sgpr_count:     38
    .sgpr_spill_count: 0
    .symbol:         _ZN2at6native32tensor_kernel_scan_innermost_dimIiSt10multipliesIiEEEvPT_PKS4_jjjS4_T0_.kd
    .uniform_work_group_size: 1
    .uses_dynamic_stack: false
    .vgpr_count:     20
    .vgpr_spill_count: 0
    .wavefront_size: 64
  - .args:
      - .address_space:  global
        .offset:         0
        .size:           8
        .value_kind:     global_buffer
      - .address_space:  global
        .offset:         8
        .size:           8
        .value_kind:     global_buffer
      - .offset:         16
        .size:           4
        .value_kind:     by_value
      - .offset:         20
        .size:           4
        .value_kind:     by_value
      - .offset:         24
        .size:           4
        .value_kind:     by_value
      - .offset:         28
        .size:           4
        .value_kind:     by_value
      - .offset:         32
        .size:           1
        .value_kind:     by_value
      - .offset:         40
        .size:           4
        .value_kind:     hidden_block_count_x
      - .offset:         44
        .size:           4
        .value_kind:     hidden_block_count_y
      - .offset:         48
        .size:           4
        .value_kind:     hidden_block_count_z
      - .offset:         52
        .size:           2
        .value_kind:     hidden_group_size_x
      - .offset:         54
        .size:           2
        .value_kind:     hidden_group_size_y
      - .offset:         56
        .size:           2
        .value_kind:     hidden_group_size_z
      - .offset:         58
        .size:           2
        .value_kind:     hidden_remainder_x
      - .offset:         60
        .size:           2
        .value_kind:     hidden_remainder_y
      - .offset:         62
        .size:           2
        .value_kind:     hidden_remainder_z
      - .offset:         80
        .size:           8
        .value_kind:     hidden_global_offset_x
      - .offset:         88
        .size:           8
        .value_kind:     hidden_global_offset_y
      - .offset:         96
        .size:           8
        .value_kind:     hidden_global_offset_z
      - .offset:         104
        .size:           2
        .value_kind:     hidden_grid_dims
    .group_segment_fixed_size: 0
    .kernarg_segment_align: 8
    .kernarg_segment_size: 296
    .language:       OpenCL C
    .language_version:
      - 2
      - 0
    .max_flat_workgroup_size: 1024
    .name:           _ZN2at6native28tensor_kernel_scan_outer_dimIijSt10multipliesIiEEEvPT_PKS4_jjjS4_T1_
    .private_segment_fixed_size: 0
    .sgpr_count:     36
    .sgpr_spill_count: 0
    .symbol:         _ZN2at6native28tensor_kernel_scan_outer_dimIijSt10multipliesIiEEEvPT_PKS4_jjjS4_T1_.kd
    .uniform_work_group_size: 1
    .uses_dynamic_stack: false
    .vgpr_count:     10
    .vgpr_spill_count: 0
    .wavefront_size: 64
  - .args:
      - .address_space:  global
        .offset:         0
        .size:           8
        .value_kind:     global_buffer
      - .address_space:  global
        .offset:         8
        .size:           8
        .value_kind:     global_buffer
      - .offset:         16
        .size:           4
        .value_kind:     by_value
      - .offset:         20
        .size:           4
        .value_kind:     by_value
      - .offset:         24
        .size:           4
        .value_kind:     by_value
      - .offset:         28
        .size:           4
        .value_kind:     by_value
      - .offset:         32
        .size:           1
        .value_kind:     by_value
      - .offset:         40
        .size:           4
        .value_kind:     hidden_block_count_x
      - .offset:         44
        .size:           4
        .value_kind:     hidden_block_count_y
      - .offset:         48
        .size:           4
        .value_kind:     hidden_block_count_z
      - .offset:         52
        .size:           2
        .value_kind:     hidden_group_size_x
      - .offset:         54
        .size:           2
        .value_kind:     hidden_group_size_y
      - .offset:         56
        .size:           2
        .value_kind:     hidden_group_size_z
      - .offset:         58
        .size:           2
        .value_kind:     hidden_remainder_x
      - .offset:         60
        .size:           2
        .value_kind:     hidden_remainder_y
      - .offset:         62
        .size:           2
        .value_kind:     hidden_remainder_z
      - .offset:         80
        .size:           8
        .value_kind:     hidden_global_offset_x
      - .offset:         88
        .size:           8
        .value_kind:     hidden_global_offset_y
      - .offset:         96
        .size:           8
        .value_kind:     hidden_global_offset_z
      - .offset:         104
        .size:           2
        .value_kind:     hidden_grid_dims
    .group_segment_fixed_size: 0
    .kernarg_segment_align: 8
    .kernarg_segment_size: 296
    .language:       OpenCL C
    .language_version:
      - 2
      - 0
    .max_flat_workgroup_size: 1024
    .name:           _ZN2at6native28tensor_kernel_scan_outer_dimIimSt10multipliesIiEEEvPT_PKS4_jjjS4_T1_
    .private_segment_fixed_size: 0
    .sgpr_count:     35
    .sgpr_spill_count: 0
    .symbol:         _ZN2at6native28tensor_kernel_scan_outer_dimIimSt10multipliesIiEEEvPT_PKS4_jjjS4_T1_.kd
    .uniform_work_group_size: 1
    .uses_dynamic_stack: false
    .vgpr_count:     10
    .vgpr_spill_count: 0
    .wavefront_size: 64
  - .args:
      - .address_space:  global
        .offset:         0
        .size:           8
        .value_kind:     global_buffer
      - .offset:         8
        .size:           4
        .value_kind:     by_value
      - .offset:         12
        .size:           4
        .value_kind:     by_value
      - .address_space:  global
        .offset:         16
        .size:           8
        .value_kind:     global_buffer
      - .offset:         24
        .size:           4
        .value_kind:     hidden_block_count_x
      - .offset:         28
        .size:           4
        .value_kind:     hidden_block_count_y
      - .offset:         32
        .size:           4
        .value_kind:     hidden_block_count_z
      - .offset:         36
        .size:           2
        .value_kind:     hidden_group_size_x
      - .offset:         38
        .size:           2
        .value_kind:     hidden_group_size_y
      - .offset:         40
        .size:           2
        .value_kind:     hidden_group_size_z
      - .offset:         42
        .size:           2
        .value_kind:     hidden_remainder_x
      - .offset:         44
        .size:           2
        .value_kind:     hidden_remainder_y
      - .offset:         46
        .size:           2
        .value_kind:     hidden_remainder_z
      - .offset:         64
        .size:           8
        .value_kind:     hidden_global_offset_x
      - .offset:         72
        .size:           8
        .value_kind:     hidden_global_offset_y
      - .offset:         80
        .size:           8
        .value_kind:     hidden_global_offset_z
      - .offset:         88
        .size:           2
        .value_kind:     hidden_grid_dims
    .group_segment_fixed_size: 0
    .kernarg_segment_align: 8
    .kernarg_segment_size: 280
    .language:       OpenCL C
    .language_version:
      - 2
      - 0
    .max_flat_workgroup_size: 256
    .name:           _ZN7rocprim17ROCPRIM_304000_NS6detail31init_lookback_scan_state_kernelINS1_19lookback_scan_stateIlLb1ELb1EEEEEvT_jjPNS5_10value_typeE
    .private_segment_fixed_size: 0
    .sgpr_count:     18
    .sgpr_spill_count: 0
    .symbol:         _ZN7rocprim17ROCPRIM_304000_NS6detail31init_lookback_scan_state_kernelINS1_19lookback_scan_stateIlLb1ELb1EEEEEvT_jjPNS5_10value_typeE.kd
    .uniform_work_group_size: 1
    .uses_dynamic_stack: false
    .vgpr_count:     8
    .vgpr_spill_count: 0
    .wavefront_size: 64
  - .args:
      - .address_space:  global
        .offset:         0
        .size:           8
        .value_kind:     global_buffer
      - .offset:         8
        .size:           4
        .value_kind:     by_value
      - .offset:         12
        .size:           4
        .value_kind:     by_value
      - .address_space:  global
        .offset:         16
        .size:           8
        .value_kind:     global_buffer
      - .offset:         24
        .size:           4
        .value_kind:     hidden_block_count_x
      - .offset:         28
        .size:           4
        .value_kind:     hidden_block_count_y
      - .offset:         32
        .size:           4
        .value_kind:     hidden_block_count_z
      - .offset:         36
        .size:           2
        .value_kind:     hidden_group_size_x
      - .offset:         38
        .size:           2
        .value_kind:     hidden_group_size_y
      - .offset:         40
        .size:           2
        .value_kind:     hidden_group_size_z
      - .offset:         42
        .size:           2
        .value_kind:     hidden_remainder_x
      - .offset:         44
        .size:           2
        .value_kind:     hidden_remainder_y
      - .offset:         46
        .size:           2
        .value_kind:     hidden_remainder_z
      - .offset:         64
        .size:           8
        .value_kind:     hidden_global_offset_x
      - .offset:         72
        .size:           8
        .value_kind:     hidden_global_offset_y
      - .offset:         80
        .size:           8
        .value_kind:     hidden_global_offset_z
      - .offset:         88
        .size:           2
        .value_kind:     hidden_grid_dims
    .group_segment_fixed_size: 0
    .kernarg_segment_align: 8
    .kernarg_segment_size: 280
    .language:       OpenCL C
    .language_version:
      - 2
      - 0
    .max_flat_workgroup_size: 256
    .name:           _ZN7rocprim17ROCPRIM_304000_NS6detail31init_lookback_scan_state_kernelINS1_19lookback_scan_stateIlLb0ELb1EEEEEvT_jjPNS5_10value_typeE
    .private_segment_fixed_size: 0
    .sgpr_count:     18
    .sgpr_spill_count: 0
    .symbol:         _ZN7rocprim17ROCPRIM_304000_NS6detail31init_lookback_scan_state_kernelINS1_19lookback_scan_stateIlLb0ELb1EEEEEvT_jjPNS5_10value_typeE.kd
    .uniform_work_group_size: 1
    .uses_dynamic_stack: false
    .vgpr_count:     8
    .vgpr_spill_count: 0
    .wavefront_size: 64
  - .args:
      - .address_space:  global
        .offset:         0
        .size:           8
        .value_kind:     global_buffer
      - .address_space:  global
        .offset:         8
        .size:           8
        .value_kind:     global_buffer
      - .offset:         16
        .size:           8
        .value_kind:     by_value
      - .offset:         24
        .size:           8
        .value_kind:     by_value
      - .offset:         32
        .size:           1
        .value_kind:     by_value
      - .address_space:  global
        .offset:         40
        .size:           8
        .value_kind:     global_buffer
      - .offset:         48
        .size:           4
        .value_kind:     by_value
      - .address_space:  global
        .offset:         56
        .size:           8
        .value_kind:     global_buffer
      - .address_space:  global
        .offset:         64
        .size:           8
        .value_kind:     global_buffer
      - .offset:         72
        .size:           1
        .value_kind:     by_value
      - .offset:         73
        .size:           1
        .value_kind:     by_value
    .group_segment_fixed_size: 0
    .kernarg_segment_align: 8
    .kernarg_segment_size: 76
    .language:       OpenCL C
    .language_version:
      - 2
      - 0
    .max_flat_workgroup_size: 64
    .name:           _ZN7rocprim17ROCPRIM_304000_NS6detail20lookback_scan_kernelILNS1_25lookback_scan_determinismE0ELb0ENS1_19wrapped_scan_configINS0_14default_configElEEPKlPlSt10multipliesIlEllNS1_19lookback_scan_stateIlLb1ELb1EEEEEvT2_T3_mT5_T4_T7_jPT6_SK_bb
    .private_segment_fixed_size: 0
    .sgpr_count:     4
    .sgpr_spill_count: 0
    .symbol:         _ZN7rocprim17ROCPRIM_304000_NS6detail20lookback_scan_kernelILNS1_25lookback_scan_determinismE0ELb0ENS1_19wrapped_scan_configINS0_14default_configElEEPKlPlSt10multipliesIlEllNS1_19lookback_scan_stateIlLb1ELb1EEEEEvT2_T3_mT5_T4_T7_jPT6_SK_bb.kd
    .uniform_work_group_size: 1
    .uses_dynamic_stack: false
    .vgpr_count:     0
    .vgpr_spill_count: 0
    .wavefront_size: 64
  - .args:
      - .address_space:  global
        .offset:         0
        .size:           8
        .value_kind:     global_buffer
      - .address_space:  global
        .offset:         8
        .size:           8
        .value_kind:     global_buffer
      - .offset:         16
        .size:           8
        .value_kind:     by_value
      - .offset:         24
        .size:           8
        .value_kind:     by_value
      - .offset:         32
        .size:           1
        .value_kind:     by_value
      - .address_space:  global
        .offset:         40
        .size:           8
        .value_kind:     global_buffer
      - .offset:         48
        .size:           4
        .value_kind:     by_value
      - .address_space:  global
        .offset:         56
        .size:           8
        .value_kind:     global_buffer
      - .address_space:  global
        .offset:         64
        .size:           8
        .value_kind:     global_buffer
      - .offset:         72
        .size:           1
        .value_kind:     by_value
      - .offset:         73
        .size:           1
        .value_kind:     by_value
    .group_segment_fixed_size: 7168
    .kernarg_segment_align: 8
    .kernarg_segment_size: 76
    .language:       OpenCL C
    .language_version:
      - 2
      - 0
    .max_flat_workgroup_size: 64
    .name:           _ZN7rocprim17ROCPRIM_304000_NS6detail20lookback_scan_kernelILNS1_25lookback_scan_determinismE0ELb0ENS1_19wrapped_scan_configINS0_14default_configElEEPKlPlSt10multipliesIlEllNS1_19lookback_scan_stateIlLb0ELb1EEEEEvT2_T3_mT5_T4_T7_jPT6_SK_bb
    .private_segment_fixed_size: 0
    .sgpr_count:     26
    .sgpr_spill_count: 0
    .symbol:         _ZN7rocprim17ROCPRIM_304000_NS6detail20lookback_scan_kernelILNS1_25lookback_scan_determinismE0ELb0ENS1_19wrapped_scan_configINS0_14default_configElEEPKlPlSt10multipliesIlEllNS1_19lookback_scan_stateIlLb0ELb1EEEEEvT2_T3_mT5_T4_T7_jPT6_SK_bb.kd
    .uniform_work_group_size: 1
    .uses_dynamic_stack: false
    .vgpr_count:     62
    .vgpr_spill_count: 0
    .wavefront_size: 64
  - .args:
      - .address_space:  global
        .offset:         0
        .size:           8
        .value_kind:     global_buffer
      - .offset:         8
        .size:           8
        .value_kind:     by_value
      - .address_space:  global
        .offset:         16
        .size:           8
        .value_kind:     global_buffer
      - .offset:         24
        .size:           1
        .value_kind:     by_value
      - .offset:         32
        .size:           4
        .value_kind:     hidden_block_count_x
      - .offset:         36
        .size:           4
        .value_kind:     hidden_block_count_y
      - .offset:         40
        .size:           4
        .value_kind:     hidden_block_count_z
      - .offset:         44
        .size:           2
        .value_kind:     hidden_group_size_x
      - .offset:         46
        .size:           2
        .value_kind:     hidden_group_size_y
      - .offset:         48
        .size:           2
        .value_kind:     hidden_group_size_z
      - .offset:         50
        .size:           2
        .value_kind:     hidden_remainder_x
      - .offset:         52
        .size:           2
        .value_kind:     hidden_remainder_y
      - .offset:         54
        .size:           2
        .value_kind:     hidden_remainder_z
      - .offset:         72
        .size:           8
        .value_kind:     hidden_global_offset_x
      - .offset:         80
        .size:           8
        .value_kind:     hidden_global_offset_y
      - .offset:         88
        .size:           8
        .value_kind:     hidden_global_offset_z
      - .offset:         96
        .size:           2
        .value_kind:     hidden_grid_dims
    .group_segment_fixed_size: 0
    .kernarg_segment_align: 8
    .kernarg_segment_size: 288
    .language:       OpenCL C
    .language_version:
      - 2
      - 0
    .max_flat_workgroup_size: 512
    .name:           _ZN7rocprim17ROCPRIM_304000_NS6detail16transform_kernelINS1_24wrapped_transform_configINS0_14default_configElEElPlS6_NS0_8identityIlEEEEvT1_mT2_T3_
    .private_segment_fixed_size: 0
    .sgpr_count:     14
    .sgpr_spill_count: 0
    .symbol:         _ZN7rocprim17ROCPRIM_304000_NS6detail16transform_kernelINS1_24wrapped_transform_configINS0_14default_configElEElPlS6_NS0_8identityIlEEEEvT1_mT2_T3_.kd
    .uniform_work_group_size: 1
    .uses_dynamic_stack: false
    .vgpr_count:     3
    .vgpr_spill_count: 0
    .wavefront_size: 64
  - .args:
      - .address_space:  global
        .offset:         0
        .size:           8
        .value_kind:     global_buffer
      - .offset:         8
        .size:           8
        .value_kind:     by_value
      - .offset:         16
        .size:           8
        .value_kind:     by_value
      - .address_space:  global
        .offset:         24
        .size:           8
        .value_kind:     global_buffer
      - .offset:         32
        .size:           1
        .value_kind:     by_value
    .group_segment_fixed_size: 7168
    .kernarg_segment_align: 8
    .kernarg_segment_size: 36
    .language:       OpenCL C
    .language_version:
      - 2
      - 0
    .max_flat_workgroup_size: 64
    .name:           _ZN7rocprim17ROCPRIM_304000_NS6detail18single_scan_kernelILb0ENS1_19wrapped_scan_configINS0_14default_configElEEPKlPlSt10multipliesIlEllEEvT1_mT4_T2_T3_
    .private_segment_fixed_size: 0
    .sgpr_count:     40
    .sgpr_spill_count: 0
    .symbol:         _ZN7rocprim17ROCPRIM_304000_NS6detail18single_scan_kernelILb0ENS1_19wrapped_scan_configINS0_14default_configElEEPKlPlSt10multipliesIlEllEEvT1_mT4_T2_T3_.kd
    .uniform_work_group_size: 1
    .uses_dynamic_stack: false
    .vgpr_count:     64
    .vgpr_spill_count: 0
    .wavefront_size: 64
  - .args:
      - .address_space:  global
        .offset:         0
        .size:           8
        .value_kind:     global_buffer
      - .address_space:  global
        .offset:         8
        .size:           8
        .value_kind:     global_buffer
      - .offset:         16
        .size:           4
        .value_kind:     by_value
      - .offset:         20
        .size:           4
        .value_kind:     by_value
      - .offset:         24
        .size:           4
        .value_kind:     by_value
      - .offset:         32
        .size:           8
        .value_kind:     by_value
      - .offset:         40
        .size:           1
        .value_kind:     by_value
      - .offset:         48
        .size:           4
        .value_kind:     hidden_block_count_x
      - .offset:         52
        .size:           4
        .value_kind:     hidden_block_count_y
      - .offset:         56
        .size:           4
        .value_kind:     hidden_block_count_z
      - .offset:         60
        .size:           2
        .value_kind:     hidden_group_size_x
      - .offset:         62
        .size:           2
        .value_kind:     hidden_group_size_y
      - .offset:         64
        .size:           2
        .value_kind:     hidden_group_size_z
      - .offset:         66
        .size:           2
        .value_kind:     hidden_remainder_x
      - .offset:         68
        .size:           2
        .value_kind:     hidden_remainder_y
      - .offset:         70
        .size:           2
        .value_kind:     hidden_remainder_z
      - .offset:         88
        .size:           8
        .value_kind:     hidden_global_offset_x
      - .offset:         96
        .size:           8
        .value_kind:     hidden_global_offset_y
      - .offset:         104
        .size:           8
        .value_kind:     hidden_global_offset_z
      - .offset:         112
        .size:           2
        .value_kind:     hidden_grid_dims
      - .offset:         168
        .size:           4
        .value_kind:     hidden_dynamic_lds_size
    .group_segment_fixed_size: 0
    .kernarg_segment_align: 8
    .kernarg_segment_size: 304
    .language:       OpenCL C
    .language_version:
      - 2
      - 0
    .max_flat_workgroup_size: 1024
    .name:           _ZN2at6native32tensor_kernel_scan_innermost_dimIlSt10multipliesIlEEEvPT_PKS4_jjjS4_T0_
    .private_segment_fixed_size: 0
    .sgpr_count:     39
    .sgpr_spill_count: 0
    .symbol:         _ZN2at6native32tensor_kernel_scan_innermost_dimIlSt10multipliesIlEEEvPT_PKS4_jjjS4_T0_.kd
    .uniform_work_group_size: 1
    .uses_dynamic_stack: false
    .vgpr_count:     22
    .vgpr_spill_count: 0
    .wavefront_size: 64
  - .args:
      - .address_space:  global
        .offset:         0
        .size:           8
        .value_kind:     global_buffer
      - .address_space:  global
        .offset:         8
        .size:           8
        .value_kind:     global_buffer
      - .offset:         16
        .size:           4
        .value_kind:     by_value
      - .offset:         20
        .size:           4
        .value_kind:     by_value
      - .offset:         24
        .size:           4
        .value_kind:     by_value
      - .offset:         32
        .size:           8
        .value_kind:     by_value
      - .offset:         40
        .size:           1
        .value_kind:     by_value
      - .offset:         48
        .size:           4
        .value_kind:     hidden_block_count_x
      - .offset:         52
        .size:           4
        .value_kind:     hidden_block_count_y
      - .offset:         56
        .size:           4
        .value_kind:     hidden_block_count_z
      - .offset:         60
        .size:           2
        .value_kind:     hidden_group_size_x
      - .offset:         62
        .size:           2
        .value_kind:     hidden_group_size_y
      - .offset:         64
        .size:           2
        .value_kind:     hidden_group_size_z
      - .offset:         66
        .size:           2
        .value_kind:     hidden_remainder_x
      - .offset:         68
        .size:           2
        .value_kind:     hidden_remainder_y
      - .offset:         70
        .size:           2
        .value_kind:     hidden_remainder_z
      - .offset:         88
        .size:           8
        .value_kind:     hidden_global_offset_x
      - .offset:         96
        .size:           8
        .value_kind:     hidden_global_offset_y
      - .offset:         104
        .size:           8
        .value_kind:     hidden_global_offset_z
      - .offset:         112
        .size:           2
        .value_kind:     hidden_grid_dims
    .group_segment_fixed_size: 0
    .kernarg_segment_align: 8
    .kernarg_segment_size: 304
    .language:       OpenCL C
    .language_version:
      - 2
      - 0
    .max_flat_workgroup_size: 1024
    .name:           _ZN2at6native28tensor_kernel_scan_outer_dimIljSt10multipliesIlEEEvPT_PKS4_jjjS4_T1_
    .private_segment_fixed_size: 0
    .sgpr_count:     40
    .sgpr_spill_count: 0
    .symbol:         _ZN2at6native28tensor_kernel_scan_outer_dimIljSt10multipliesIlEEEvPT_PKS4_jjjS4_T1_.kd
    .uniform_work_group_size: 1
    .uses_dynamic_stack: false
    .vgpr_count:     13
    .vgpr_spill_count: 0
    .wavefront_size: 64
  - .args:
      - .address_space:  global
        .offset:         0
        .size:           8
        .value_kind:     global_buffer
      - .address_space:  global
        .offset:         8
        .size:           8
        .value_kind:     global_buffer
      - .offset:         16
        .size:           4
        .value_kind:     by_value
      - .offset:         20
        .size:           4
        .value_kind:     by_value
      - .offset:         24
        .size:           4
        .value_kind:     by_value
      - .offset:         32
        .size:           8
        .value_kind:     by_value
      - .offset:         40
        .size:           1
        .value_kind:     by_value
      - .offset:         48
        .size:           4
        .value_kind:     hidden_block_count_x
      - .offset:         52
        .size:           4
        .value_kind:     hidden_block_count_y
      - .offset:         56
        .size:           4
        .value_kind:     hidden_block_count_z
      - .offset:         60
        .size:           2
        .value_kind:     hidden_group_size_x
      - .offset:         62
        .size:           2
        .value_kind:     hidden_group_size_y
      - .offset:         64
        .size:           2
        .value_kind:     hidden_group_size_z
      - .offset:         66
        .size:           2
        .value_kind:     hidden_remainder_x
      - .offset:         68
        .size:           2
        .value_kind:     hidden_remainder_y
      - .offset:         70
        .size:           2
        .value_kind:     hidden_remainder_z
      - .offset:         88
        .size:           8
        .value_kind:     hidden_global_offset_x
      - .offset:         96
        .size:           8
        .value_kind:     hidden_global_offset_y
      - .offset:         104
        .size:           8
        .value_kind:     hidden_global_offset_z
      - .offset:         112
        .size:           2
        .value_kind:     hidden_grid_dims
    .group_segment_fixed_size: 0
    .kernarg_segment_align: 8
    .kernarg_segment_size: 304
    .language:       OpenCL C
    .language_version:
      - 2
      - 0
    .max_flat_workgroup_size: 1024
    .name:           _ZN2at6native28tensor_kernel_scan_outer_dimIlmSt10multipliesIlEEEvPT_PKS4_jjjS4_T1_
    .private_segment_fixed_size: 0
    .sgpr_count:     40
    .sgpr_spill_count: 0
    .symbol:         _ZN2at6native28tensor_kernel_scan_outer_dimIlmSt10multipliesIlEEEvPT_PKS4_jjjS4_T1_.kd
    .uniform_work_group_size: 1
    .uses_dynamic_stack: false
    .vgpr_count:     13
    .vgpr_spill_count: 0
    .wavefront_size: 64
  - .args:
      - .address_space:  global
        .offset:         0
        .size:           8
        .value_kind:     global_buffer
      - .offset:         8
        .size:           4
        .value_kind:     by_value
      - .offset:         12
        .size:           4
        .value_kind:     by_value
      - .address_space:  global
        .offset:         16
        .size:           8
        .value_kind:     global_buffer
      - .offset:         24
        .size:           4
        .value_kind:     hidden_block_count_x
      - .offset:         28
        .size:           4
        .value_kind:     hidden_block_count_y
      - .offset:         32
        .size:           4
        .value_kind:     hidden_block_count_z
      - .offset:         36
        .size:           2
        .value_kind:     hidden_group_size_x
      - .offset:         38
        .size:           2
        .value_kind:     hidden_group_size_y
      - .offset:         40
        .size:           2
        .value_kind:     hidden_group_size_z
      - .offset:         42
        .size:           2
        .value_kind:     hidden_remainder_x
      - .offset:         44
        .size:           2
        .value_kind:     hidden_remainder_y
      - .offset:         46
        .size:           2
        .value_kind:     hidden_remainder_z
      - .offset:         64
        .size:           8
        .value_kind:     hidden_global_offset_x
      - .offset:         72
        .size:           8
        .value_kind:     hidden_global_offset_y
      - .offset:         80
        .size:           8
        .value_kind:     hidden_global_offset_z
      - .offset:         88
        .size:           2
        .value_kind:     hidden_grid_dims
    .group_segment_fixed_size: 0
    .kernarg_segment_align: 8
    .kernarg_segment_size: 280
    .language:       OpenCL C
    .language_version:
      - 2
      - 0
    .max_flat_workgroup_size: 256
    .name:           _ZN7rocprim17ROCPRIM_304000_NS6detail31init_lookback_scan_state_kernelINS1_19lookback_scan_stateIsLb1ELb1EEEEEvT_jjPNS5_10value_typeE
    .private_segment_fixed_size: 0
    .sgpr_count:     16
    .sgpr_spill_count: 0
    .symbol:         _ZN7rocprim17ROCPRIM_304000_NS6detail31init_lookback_scan_state_kernelINS1_19lookback_scan_stateIsLb1ELb1EEEEEvT_jjPNS5_10value_typeE.kd
    .uniform_work_group_size: 1
    .uses_dynamic_stack: false
    .vgpr_count:     5
    .vgpr_spill_count: 0
    .wavefront_size: 64
  - .args:
      - .address_space:  global
        .offset:         0
        .size:           8
        .value_kind:     global_buffer
      - .offset:         8
        .size:           4
        .value_kind:     by_value
      - .offset:         12
        .size:           4
        .value_kind:     by_value
      - .address_space:  global
        .offset:         16
        .size:           8
        .value_kind:     global_buffer
      - .offset:         24
        .size:           4
        .value_kind:     hidden_block_count_x
      - .offset:         28
        .size:           4
        .value_kind:     hidden_block_count_y
      - .offset:         32
        .size:           4
        .value_kind:     hidden_block_count_z
      - .offset:         36
        .size:           2
        .value_kind:     hidden_group_size_x
      - .offset:         38
        .size:           2
        .value_kind:     hidden_group_size_y
      - .offset:         40
        .size:           2
        .value_kind:     hidden_group_size_z
      - .offset:         42
        .size:           2
        .value_kind:     hidden_remainder_x
      - .offset:         44
        .size:           2
        .value_kind:     hidden_remainder_y
      - .offset:         46
        .size:           2
        .value_kind:     hidden_remainder_z
      - .offset:         64
        .size:           8
        .value_kind:     hidden_global_offset_x
      - .offset:         72
        .size:           8
        .value_kind:     hidden_global_offset_y
      - .offset:         80
        .size:           8
        .value_kind:     hidden_global_offset_z
      - .offset:         88
        .size:           2
        .value_kind:     hidden_grid_dims
    .group_segment_fixed_size: 0
    .kernarg_segment_align: 8
    .kernarg_segment_size: 280
    .language:       OpenCL C
    .language_version:
      - 2
      - 0
    .max_flat_workgroup_size: 256
    .name:           _ZN7rocprim17ROCPRIM_304000_NS6detail31init_lookback_scan_state_kernelINS1_19lookback_scan_stateIsLb0ELb1EEEEEvT_jjPNS5_10value_typeE
    .private_segment_fixed_size: 0
    .sgpr_count:     14
    .sgpr_spill_count: 0
    .symbol:         _ZN7rocprim17ROCPRIM_304000_NS6detail31init_lookback_scan_state_kernelINS1_19lookback_scan_stateIsLb0ELb1EEEEEvT_jjPNS5_10value_typeE.kd
    .uniform_work_group_size: 1
    .uses_dynamic_stack: false
    .vgpr_count:     5
    .vgpr_spill_count: 0
    .wavefront_size: 64
  - .args:
      - .address_space:  global
        .offset:         0
        .size:           8
        .value_kind:     global_buffer
      - .address_space:  global
        .offset:         8
        .size:           8
        .value_kind:     global_buffer
      - .offset:         16
        .size:           8
        .value_kind:     by_value
      - .offset:         24
        .size:           2
        .value_kind:     by_value
      - .offset:         26
        .size:           1
        .value_kind:     by_value
      - .address_space:  global
        .offset:         32
        .size:           8
        .value_kind:     global_buffer
      - .offset:         40
        .size:           4
        .value_kind:     by_value
      - .address_space:  global
        .offset:         48
        .size:           8
        .value_kind:     global_buffer
      - .address_space:  global
        .offset:         56
        .size:           8
        .value_kind:     global_buffer
      - .offset:         64
        .size:           1
        .value_kind:     by_value
      - .offset:         65
        .size:           1
        .value_kind:     by_value
    .group_segment_fixed_size: 0
    .kernarg_segment_align: 8
    .kernarg_segment_size: 68
    .language:       OpenCL C
    .language_version:
      - 2
      - 0
    .max_flat_workgroup_size: 256
    .name:           _ZN7rocprim17ROCPRIM_304000_NS6detail20lookback_scan_kernelILNS1_25lookback_scan_determinismE0ELb0ENS1_19wrapped_scan_configINS0_14default_configEsEEPKsPsSt10multipliesIsEssNS1_19lookback_scan_stateIsLb1ELb1EEEEEvT2_T3_mT5_T4_T7_jPT6_SK_bb
    .private_segment_fixed_size: 0
    .sgpr_count:     4
    .sgpr_spill_count: 0
    .symbol:         _ZN7rocprim17ROCPRIM_304000_NS6detail20lookback_scan_kernelILNS1_25lookback_scan_determinismE0ELb0ENS1_19wrapped_scan_configINS0_14default_configEsEEPKsPsSt10multipliesIsEssNS1_19lookback_scan_stateIsLb1ELb1EEEEEvT2_T3_mT5_T4_T7_jPT6_SK_bb.kd
    .uniform_work_group_size: 1
    .uses_dynamic_stack: false
    .vgpr_count:     0
    .vgpr_spill_count: 0
    .wavefront_size: 64
  - .args:
      - .address_space:  global
        .offset:         0
        .size:           8
        .value_kind:     global_buffer
      - .address_space:  global
        .offset:         8
        .size:           8
        .value_kind:     global_buffer
      - .offset:         16
        .size:           8
        .value_kind:     by_value
      - .offset:         24
        .size:           2
        .value_kind:     by_value
      - .offset:         26
        .size:           1
        .value_kind:     by_value
      - .address_space:  global
        .offset:         32
        .size:           8
        .value_kind:     global_buffer
      - .offset:         40
        .size:           4
        .value_kind:     by_value
      - .address_space:  global
        .offset:         48
        .size:           8
        .value_kind:     global_buffer
      - .address_space:  global
        .offset:         56
        .size:           8
        .value_kind:     global_buffer
      - .offset:         64
        .size:           1
        .value_kind:     by_value
      - .offset:         65
        .size:           1
        .value_kind:     by_value
    .group_segment_fixed_size: 12288
    .kernarg_segment_align: 8
    .kernarg_segment_size: 68
    .language:       OpenCL C
    .language_version:
      - 2
      - 0
    .max_flat_workgroup_size: 256
    .name:           _ZN7rocprim17ROCPRIM_304000_NS6detail20lookback_scan_kernelILNS1_25lookback_scan_determinismE0ELb0ENS1_19wrapped_scan_configINS0_14default_configEsEEPKsPsSt10multipliesIsEssNS1_19lookback_scan_stateIsLb0ELb1EEEEEvT2_T3_mT5_T4_T7_jPT6_SK_bb
    .private_segment_fixed_size: 0
    .sgpr_count:     30
    .sgpr_spill_count: 0
    .symbol:         _ZN7rocprim17ROCPRIM_304000_NS6detail20lookback_scan_kernelILNS1_25lookback_scan_determinismE0ELb0ENS1_19wrapped_scan_configINS0_14default_configEsEEPKsPsSt10multipliesIsEssNS1_19lookback_scan_stateIsLb0ELb1EEEEEvT2_T3_mT5_T4_T7_jPT6_SK_bb.kd
    .uniform_work_group_size: 1
    .uses_dynamic_stack: false
    .vgpr_count:     46
    .vgpr_spill_count: 0
    .wavefront_size: 64
  - .args:
      - .address_space:  global
        .offset:         0
        .size:           8
        .value_kind:     global_buffer
      - .offset:         8
        .size:           8
        .value_kind:     by_value
      - .address_space:  global
        .offset:         16
        .size:           8
        .value_kind:     global_buffer
      - .offset:         24
        .size:           1
        .value_kind:     by_value
      - .offset:         32
        .size:           4
        .value_kind:     hidden_block_count_x
      - .offset:         36
        .size:           4
        .value_kind:     hidden_block_count_y
      - .offset:         40
        .size:           4
        .value_kind:     hidden_block_count_z
      - .offset:         44
        .size:           2
        .value_kind:     hidden_group_size_x
      - .offset:         46
        .size:           2
        .value_kind:     hidden_group_size_y
      - .offset:         48
        .size:           2
        .value_kind:     hidden_group_size_z
      - .offset:         50
        .size:           2
        .value_kind:     hidden_remainder_x
      - .offset:         52
        .size:           2
        .value_kind:     hidden_remainder_y
      - .offset:         54
        .size:           2
        .value_kind:     hidden_remainder_z
      - .offset:         72
        .size:           8
        .value_kind:     hidden_global_offset_x
      - .offset:         80
        .size:           8
        .value_kind:     hidden_global_offset_y
      - .offset:         88
        .size:           8
        .value_kind:     hidden_global_offset_z
      - .offset:         96
        .size:           2
        .value_kind:     hidden_grid_dims
    .group_segment_fixed_size: 0
    .kernarg_segment_align: 8
    .kernarg_segment_size: 288
    .language:       OpenCL C
    .language_version:
      - 2
      - 0
    .max_flat_workgroup_size: 512
    .name:           _ZN7rocprim17ROCPRIM_304000_NS6detail16transform_kernelINS1_24wrapped_transform_configINS0_14default_configEsEEsPsS6_NS0_8identityIsEEEEvT1_mT2_T3_
    .private_segment_fixed_size: 0
    .sgpr_count:     19
    .sgpr_spill_count: 0
    .symbol:         _ZN7rocprim17ROCPRIM_304000_NS6detail16transform_kernelINS1_24wrapped_transform_configINS0_14default_configEsEEsPsS6_NS0_8identityIsEEEEvT1_mT2_T3_.kd
    .uniform_work_group_size: 1
    .uses_dynamic_stack: false
    .vgpr_count:     8
    .vgpr_spill_count: 0
    .wavefront_size: 64
  - .args:
      - .address_space:  global
        .offset:         0
        .size:           8
        .value_kind:     global_buffer
      - .offset:         8
        .size:           8
        .value_kind:     by_value
      - .offset:         16
        .size:           2
        .value_kind:     by_value
      - .address_space:  global
        .offset:         24
        .size:           8
        .value_kind:     global_buffer
      - .offset:         32
        .size:           1
        .value_kind:     by_value
    .group_segment_fixed_size: 12288
    .kernarg_segment_align: 8
    .kernarg_segment_size: 36
    .language:       OpenCL C
    .language_version:
      - 2
      - 0
    .max_flat_workgroup_size: 256
    .name:           _ZN7rocprim17ROCPRIM_304000_NS6detail18single_scan_kernelILb0ENS1_19wrapped_scan_configINS0_14default_configEsEEPKsPsSt10multipliesIsEssEEvT1_mT4_T2_T3_
    .private_segment_fixed_size: 0
    .sgpr_count:     58
    .sgpr_spill_count: 0
    .symbol:         _ZN7rocprim17ROCPRIM_304000_NS6detail18single_scan_kernelILb0ENS1_19wrapped_scan_configINS0_14default_configEsEEPKsPsSt10multipliesIsEssEEvT1_mT4_T2_T3_.kd
    .uniform_work_group_size: 1
    .uses_dynamic_stack: false
    .vgpr_count:     45
    .vgpr_spill_count: 0
    .wavefront_size: 64
  - .args:
      - .address_space:  global
        .offset:         0
        .size:           8
        .value_kind:     global_buffer
      - .address_space:  global
        .offset:         8
        .size:           8
        .value_kind:     global_buffer
      - .offset:         16
        .size:           4
        .value_kind:     by_value
      - .offset:         20
        .size:           4
        .value_kind:     by_value
      - .offset:         24
        .size:           4
        .value_kind:     by_value
      - .offset:         28
        .size:           2
        .value_kind:     by_value
      - .offset:         30
        .size:           1
        .value_kind:     by_value
      - .offset:         32
        .size:           4
        .value_kind:     hidden_block_count_x
      - .offset:         36
        .size:           4
        .value_kind:     hidden_block_count_y
      - .offset:         40
        .size:           4
        .value_kind:     hidden_block_count_z
      - .offset:         44
        .size:           2
        .value_kind:     hidden_group_size_x
      - .offset:         46
        .size:           2
        .value_kind:     hidden_group_size_y
      - .offset:         48
        .size:           2
        .value_kind:     hidden_group_size_z
      - .offset:         50
        .size:           2
        .value_kind:     hidden_remainder_x
      - .offset:         52
        .size:           2
        .value_kind:     hidden_remainder_y
      - .offset:         54
        .size:           2
        .value_kind:     hidden_remainder_z
      - .offset:         72
        .size:           8
        .value_kind:     hidden_global_offset_x
      - .offset:         80
        .size:           8
        .value_kind:     hidden_global_offset_y
      - .offset:         88
        .size:           8
        .value_kind:     hidden_global_offset_z
      - .offset:         96
        .size:           2
        .value_kind:     hidden_grid_dims
      - .offset:         152
        .size:           4
        .value_kind:     hidden_dynamic_lds_size
    .group_segment_fixed_size: 0
    .kernarg_segment_align: 8
    .kernarg_segment_size: 288
    .language:       OpenCL C
    .language_version:
      - 2
      - 0
    .max_flat_workgroup_size: 1024
    .name:           _ZN2at6native32tensor_kernel_scan_innermost_dimIsSt10multipliesIsEEEvPT_PKS4_jjjS4_T0_
    .private_segment_fixed_size: 0
    .sgpr_count:     38
    .sgpr_spill_count: 0
    .symbol:         _ZN2at6native32tensor_kernel_scan_innermost_dimIsSt10multipliesIsEEEvPT_PKS4_jjjS4_T0_.kd
    .uniform_work_group_size: 1
    .uses_dynamic_stack: false
    .vgpr_count:     20
    .vgpr_spill_count: 0
    .wavefront_size: 64
  - .args:
      - .address_space:  global
        .offset:         0
        .size:           8
        .value_kind:     global_buffer
      - .address_space:  global
        .offset:         8
        .size:           8
        .value_kind:     global_buffer
      - .offset:         16
        .size:           4
        .value_kind:     by_value
      - .offset:         20
        .size:           4
        .value_kind:     by_value
      - .offset:         24
        .size:           4
        .value_kind:     by_value
      - .offset:         28
        .size:           2
        .value_kind:     by_value
      - .offset:         30
        .size:           1
        .value_kind:     by_value
      - .offset:         32
        .size:           4
        .value_kind:     hidden_block_count_x
      - .offset:         36
        .size:           4
        .value_kind:     hidden_block_count_y
      - .offset:         40
        .size:           4
        .value_kind:     hidden_block_count_z
      - .offset:         44
        .size:           2
        .value_kind:     hidden_group_size_x
      - .offset:         46
        .size:           2
        .value_kind:     hidden_group_size_y
      - .offset:         48
        .size:           2
        .value_kind:     hidden_group_size_z
      - .offset:         50
        .size:           2
        .value_kind:     hidden_remainder_x
      - .offset:         52
        .size:           2
        .value_kind:     hidden_remainder_y
      - .offset:         54
        .size:           2
        .value_kind:     hidden_remainder_z
      - .offset:         72
        .size:           8
        .value_kind:     hidden_global_offset_x
      - .offset:         80
        .size:           8
        .value_kind:     hidden_global_offset_y
      - .offset:         88
        .size:           8
        .value_kind:     hidden_global_offset_z
      - .offset:         96
        .size:           2
        .value_kind:     hidden_grid_dims
    .group_segment_fixed_size: 0
    .kernarg_segment_align: 8
    .kernarg_segment_size: 288
    .language:       OpenCL C
    .language_version:
      - 2
      - 0
    .max_flat_workgroup_size: 1024
    .name:           _ZN2at6native28tensor_kernel_scan_outer_dimIsjSt10multipliesIsEEEvPT_PKS4_jjjS4_T1_
    .private_segment_fixed_size: 0
    .sgpr_count:     36
    .sgpr_spill_count: 0
    .symbol:         _ZN2at6native28tensor_kernel_scan_outer_dimIsjSt10multipliesIsEEEvPT_PKS4_jjjS4_T1_.kd
    .uniform_work_group_size: 1
    .uses_dynamic_stack: false
    .vgpr_count:     10
    .vgpr_spill_count: 0
    .wavefront_size: 64
  - .args:
      - .address_space:  global
        .offset:         0
        .size:           8
        .value_kind:     global_buffer
      - .address_space:  global
        .offset:         8
        .size:           8
        .value_kind:     global_buffer
      - .offset:         16
        .size:           4
        .value_kind:     by_value
      - .offset:         20
        .size:           4
        .value_kind:     by_value
      - .offset:         24
        .size:           4
        .value_kind:     by_value
      - .offset:         28
        .size:           2
        .value_kind:     by_value
      - .offset:         30
        .size:           1
        .value_kind:     by_value
      - .offset:         32
        .size:           4
        .value_kind:     hidden_block_count_x
      - .offset:         36
        .size:           4
        .value_kind:     hidden_block_count_y
      - .offset:         40
        .size:           4
        .value_kind:     hidden_block_count_z
      - .offset:         44
        .size:           2
        .value_kind:     hidden_group_size_x
      - .offset:         46
        .size:           2
        .value_kind:     hidden_group_size_y
      - .offset:         48
        .size:           2
        .value_kind:     hidden_group_size_z
      - .offset:         50
        .size:           2
        .value_kind:     hidden_remainder_x
      - .offset:         52
        .size:           2
        .value_kind:     hidden_remainder_y
      - .offset:         54
        .size:           2
        .value_kind:     hidden_remainder_z
      - .offset:         72
        .size:           8
        .value_kind:     hidden_global_offset_x
      - .offset:         80
        .size:           8
        .value_kind:     hidden_global_offset_y
      - .offset:         88
        .size:           8
        .value_kind:     hidden_global_offset_z
      - .offset:         96
        .size:           2
        .value_kind:     hidden_grid_dims
    .group_segment_fixed_size: 0
    .kernarg_segment_align: 8
    .kernarg_segment_size: 288
    .language:       OpenCL C
    .language_version:
      - 2
      - 0
    .max_flat_workgroup_size: 1024
    .name:           _ZN2at6native28tensor_kernel_scan_outer_dimIsmSt10multipliesIsEEEvPT_PKS4_jjjS4_T1_
    .private_segment_fixed_size: 0
    .sgpr_count:     35
    .sgpr_spill_count: 0
    .symbol:         _ZN2at6native28tensor_kernel_scan_outer_dimIsmSt10multipliesIsEEEvPT_PKS4_jjjS4_T1_.kd
    .uniform_work_group_size: 1
    .uses_dynamic_stack: false
    .vgpr_count:     10
    .vgpr_spill_count: 0
    .wavefront_size: 64
  - .args:
      - .address_space:  global
        .offset:         0
        .size:           8
        .value_kind:     global_buffer
      - .offset:         8
        .size:           4
        .value_kind:     by_value
      - .offset:         12
        .size:           4
        .value_kind:     by_value
      - .address_space:  global
        .offset:         16
        .size:           8
        .value_kind:     global_buffer
      - .offset:         24
        .size:           4
        .value_kind:     hidden_block_count_x
      - .offset:         28
        .size:           4
        .value_kind:     hidden_block_count_y
      - .offset:         32
        .size:           4
        .value_kind:     hidden_block_count_z
      - .offset:         36
        .size:           2
        .value_kind:     hidden_group_size_x
      - .offset:         38
        .size:           2
        .value_kind:     hidden_group_size_y
      - .offset:         40
        .size:           2
        .value_kind:     hidden_group_size_z
      - .offset:         42
        .size:           2
        .value_kind:     hidden_remainder_x
      - .offset:         44
        .size:           2
        .value_kind:     hidden_remainder_y
      - .offset:         46
        .size:           2
        .value_kind:     hidden_remainder_z
      - .offset:         64
        .size:           8
        .value_kind:     hidden_global_offset_x
      - .offset:         72
        .size:           8
        .value_kind:     hidden_global_offset_y
      - .offset:         80
        .size:           8
        .value_kind:     hidden_global_offset_z
      - .offset:         88
        .size:           2
        .value_kind:     hidden_grid_dims
    .group_segment_fixed_size: 0
    .kernarg_segment_align: 8
    .kernarg_segment_size: 280
    .language:       OpenCL C
    .language_version:
      - 2
      - 0
    .max_flat_workgroup_size: 256
    .name:           _ZN7rocprim17ROCPRIM_304000_NS6detail31init_lookback_scan_state_kernelINS1_19lookback_scan_stateIdLb1ELb1EEEEEvT_jjPNS5_10value_typeE
    .private_segment_fixed_size: 0
    .sgpr_count:     18
    .sgpr_spill_count: 0
    .symbol:         _ZN7rocprim17ROCPRIM_304000_NS6detail31init_lookback_scan_state_kernelINS1_19lookback_scan_stateIdLb1ELb1EEEEEvT_jjPNS5_10value_typeE.kd
    .uniform_work_group_size: 1
    .uses_dynamic_stack: false
    .vgpr_count:     8
    .vgpr_spill_count: 0
    .wavefront_size: 64
  - .args:
      - .address_space:  global
        .offset:         0
        .size:           8
        .value_kind:     global_buffer
      - .offset:         8
        .size:           4
        .value_kind:     by_value
      - .offset:         12
        .size:           4
        .value_kind:     by_value
      - .address_space:  global
        .offset:         16
        .size:           8
        .value_kind:     global_buffer
      - .offset:         24
        .size:           4
        .value_kind:     hidden_block_count_x
      - .offset:         28
        .size:           4
        .value_kind:     hidden_block_count_y
      - .offset:         32
        .size:           4
        .value_kind:     hidden_block_count_z
      - .offset:         36
        .size:           2
        .value_kind:     hidden_group_size_x
      - .offset:         38
        .size:           2
        .value_kind:     hidden_group_size_y
      - .offset:         40
        .size:           2
        .value_kind:     hidden_group_size_z
      - .offset:         42
        .size:           2
        .value_kind:     hidden_remainder_x
      - .offset:         44
        .size:           2
        .value_kind:     hidden_remainder_y
      - .offset:         46
        .size:           2
        .value_kind:     hidden_remainder_z
      - .offset:         64
        .size:           8
        .value_kind:     hidden_global_offset_x
      - .offset:         72
        .size:           8
        .value_kind:     hidden_global_offset_y
      - .offset:         80
        .size:           8
        .value_kind:     hidden_global_offset_z
      - .offset:         88
        .size:           2
        .value_kind:     hidden_grid_dims
    .group_segment_fixed_size: 0
    .kernarg_segment_align: 8
    .kernarg_segment_size: 280
    .language:       OpenCL C
    .language_version:
      - 2
      - 0
    .max_flat_workgroup_size: 256
    .name:           _ZN7rocprim17ROCPRIM_304000_NS6detail31init_lookback_scan_state_kernelINS1_19lookback_scan_stateIdLb0ELb1EEEEEvT_jjPNS5_10value_typeE
    .private_segment_fixed_size: 0
    .sgpr_count:     18
    .sgpr_spill_count: 0
    .symbol:         _ZN7rocprim17ROCPRIM_304000_NS6detail31init_lookback_scan_state_kernelINS1_19lookback_scan_stateIdLb0ELb1EEEEEvT_jjPNS5_10value_typeE.kd
    .uniform_work_group_size: 1
    .uses_dynamic_stack: false
    .vgpr_count:     8
    .vgpr_spill_count: 0
    .wavefront_size: 64
  - .args:
      - .address_space:  global
        .offset:         0
        .size:           8
        .value_kind:     global_buffer
      - .address_space:  global
        .offset:         8
        .size:           8
        .value_kind:     global_buffer
      - .offset:         16
        .size:           8
        .value_kind:     by_value
      - .offset:         24
        .size:           8
        .value_kind:     by_value
      - .offset:         32
        .size:           1
        .value_kind:     by_value
      - .address_space:  global
        .offset:         40
        .size:           8
        .value_kind:     global_buffer
      - .offset:         48
        .size:           4
        .value_kind:     by_value
      - .address_space:  global
        .offset:         56
        .size:           8
        .value_kind:     global_buffer
      - .address_space:  global
        .offset:         64
        .size:           8
        .value_kind:     global_buffer
      - .offset:         72
        .size:           1
        .value_kind:     by_value
      - .offset:         73
        .size:           1
        .value_kind:     by_value
    .group_segment_fixed_size: 0
    .kernarg_segment_align: 8
    .kernarg_segment_size: 76
    .language:       OpenCL C
    .language_version:
      - 2
      - 0
    .max_flat_workgroup_size: 128
    .name:           _ZN7rocprim17ROCPRIM_304000_NS6detail20lookback_scan_kernelILNS1_25lookback_scan_determinismE0ELb0ENS1_19wrapped_scan_configINS0_14default_configEdEEPKdPdSt10multipliesIdEddNS1_19lookback_scan_stateIdLb1ELb1EEEEEvT2_T3_mT5_T4_T7_jPT6_SK_bb
    .private_segment_fixed_size: 0
    .sgpr_count:     4
    .sgpr_spill_count: 0
    .symbol:         _ZN7rocprim17ROCPRIM_304000_NS6detail20lookback_scan_kernelILNS1_25lookback_scan_determinismE0ELb0ENS1_19wrapped_scan_configINS0_14default_configEdEEPKdPdSt10multipliesIdEddNS1_19lookback_scan_stateIdLb1ELb1EEEEEvT2_T3_mT5_T4_T7_jPT6_SK_bb.kd
    .uniform_work_group_size: 1
    .uses_dynamic_stack: false
    .vgpr_count:     0
    .vgpr_spill_count: 0
    .wavefront_size: 64
  - .args:
      - .address_space:  global
        .offset:         0
        .size:           8
        .value_kind:     global_buffer
      - .address_space:  global
        .offset:         8
        .size:           8
        .value_kind:     global_buffer
      - .offset:         16
        .size:           8
        .value_kind:     by_value
      - .offset:         24
        .size:           8
        .value_kind:     by_value
      - .offset:         32
        .size:           1
        .value_kind:     by_value
      - .address_space:  global
        .offset:         40
        .size:           8
        .value_kind:     global_buffer
      - .offset:         48
        .size:           4
        .value_kind:     by_value
      - .address_space:  global
        .offset:         56
        .size:           8
        .value_kind:     global_buffer
      - .address_space:  global
        .offset:         64
        .size:           8
        .value_kind:     global_buffer
      - .offset:         72
        .size:           1
        .value_kind:     by_value
      - .offset:         73
        .size:           1
        .value_kind:     by_value
    .group_segment_fixed_size: 10240
    .kernarg_segment_align: 8
    .kernarg_segment_size: 76
    .language:       OpenCL C
    .language_version:
      - 2
      - 0
    .max_flat_workgroup_size: 128
    .name:           _ZN7rocprim17ROCPRIM_304000_NS6detail20lookback_scan_kernelILNS1_25lookback_scan_determinismE0ELb0ENS1_19wrapped_scan_configINS0_14default_configEdEEPKdPdSt10multipliesIdEddNS1_19lookback_scan_stateIdLb0ELb1EEEEEvT2_T3_mT5_T4_T7_jPT6_SK_bb
    .private_segment_fixed_size: 0
    .sgpr_count:     30
    .sgpr_spill_count: 0
    .symbol:         _ZN7rocprim17ROCPRIM_304000_NS6detail20lookback_scan_kernelILNS1_25lookback_scan_determinismE0ELb0ENS1_19wrapped_scan_configINS0_14default_configEdEEPKdPdSt10multipliesIdEddNS1_19lookback_scan_stateIdLb0ELb1EEEEEvT2_T3_mT5_T4_T7_jPT6_SK_bb.kd
    .uniform_work_group_size: 1
    .uses_dynamic_stack: false
    .vgpr_count:     54
    .vgpr_spill_count: 0
    .wavefront_size: 64
  - .args:
      - .address_space:  global
        .offset:         0
        .size:           8
        .value_kind:     global_buffer
      - .offset:         8
        .size:           8
        .value_kind:     by_value
      - .address_space:  global
        .offset:         16
        .size:           8
        .value_kind:     global_buffer
      - .offset:         24
        .size:           1
        .value_kind:     by_value
      - .offset:         32
        .size:           4
        .value_kind:     hidden_block_count_x
      - .offset:         36
        .size:           4
        .value_kind:     hidden_block_count_y
      - .offset:         40
        .size:           4
        .value_kind:     hidden_block_count_z
      - .offset:         44
        .size:           2
        .value_kind:     hidden_group_size_x
      - .offset:         46
        .size:           2
        .value_kind:     hidden_group_size_y
      - .offset:         48
        .size:           2
        .value_kind:     hidden_group_size_z
      - .offset:         50
        .size:           2
        .value_kind:     hidden_remainder_x
      - .offset:         52
        .size:           2
        .value_kind:     hidden_remainder_y
      - .offset:         54
        .size:           2
        .value_kind:     hidden_remainder_z
      - .offset:         72
        .size:           8
        .value_kind:     hidden_global_offset_x
      - .offset:         80
        .size:           8
        .value_kind:     hidden_global_offset_y
      - .offset:         88
        .size:           8
        .value_kind:     hidden_global_offset_z
      - .offset:         96
        .size:           2
        .value_kind:     hidden_grid_dims
    .group_segment_fixed_size: 0
    .kernarg_segment_align: 8
    .kernarg_segment_size: 288
    .language:       OpenCL C
    .language_version:
      - 2
      - 0
    .max_flat_workgroup_size: 1024
    .name:           _ZN7rocprim17ROCPRIM_304000_NS6detail16transform_kernelINS1_24wrapped_transform_configINS0_14default_configEdEEdPdS6_NS0_8identityIdEEEEvT1_mT2_T3_
    .private_segment_fixed_size: 0
    .sgpr_count:     14
    .sgpr_spill_count: 0
    .symbol:         _ZN7rocprim17ROCPRIM_304000_NS6detail16transform_kernelINS1_24wrapped_transform_configINS0_14default_configEdEEdPdS6_NS0_8identityIdEEEEvT1_mT2_T3_.kd
    .uniform_work_group_size: 1
    .uses_dynamic_stack: false
    .vgpr_count:     3
    .vgpr_spill_count: 0
    .wavefront_size: 64
  - .args:
      - .address_space:  global
        .offset:         0
        .size:           8
        .value_kind:     global_buffer
      - .offset:         8
        .size:           8
        .value_kind:     by_value
      - .offset:         16
        .size:           8
        .value_kind:     by_value
      - .address_space:  global
        .offset:         24
        .size:           8
        .value_kind:     global_buffer
      - .offset:         32
        .size:           1
        .value_kind:     by_value
    .group_segment_fixed_size: 10240
    .kernarg_segment_align: 8
    .kernarg_segment_size: 36
    .language:       OpenCL C
    .language_version:
      - 2
      - 0
    .max_flat_workgroup_size: 128
    .name:           _ZN7rocprim17ROCPRIM_304000_NS6detail18single_scan_kernelILb0ENS1_19wrapped_scan_configINS0_14default_configEdEEPKdPdSt10multipliesIdEddEEvT1_mT4_T2_T3_
    .private_segment_fixed_size: 0
    .sgpr_count:     30
    .sgpr_spill_count: 0
    .symbol:         _ZN7rocprim17ROCPRIM_304000_NS6detail18single_scan_kernelILb0ENS1_19wrapped_scan_configINS0_14default_configEdEEPKdPdSt10multipliesIdEddEEvT1_mT4_T2_T3_.kd
    .uniform_work_group_size: 1
    .uses_dynamic_stack: false
    .vgpr_count:     52
    .vgpr_spill_count: 0
    .wavefront_size: 64
  - .args:
      - .address_space:  global
        .offset:         0
        .size:           8
        .value_kind:     global_buffer
      - .address_space:  global
        .offset:         8
        .size:           8
        .value_kind:     global_buffer
      - .offset:         16
        .size:           4
        .value_kind:     by_value
      - .offset:         20
        .size:           4
        .value_kind:     by_value
      - .offset:         24
        .size:           4
        .value_kind:     by_value
      - .offset:         32
        .size:           8
        .value_kind:     by_value
      - .offset:         40
        .size:           1
        .value_kind:     by_value
      - .offset:         48
        .size:           4
        .value_kind:     hidden_block_count_x
      - .offset:         52
        .size:           4
        .value_kind:     hidden_block_count_y
      - .offset:         56
        .size:           4
        .value_kind:     hidden_block_count_z
      - .offset:         60
        .size:           2
        .value_kind:     hidden_group_size_x
      - .offset:         62
        .size:           2
        .value_kind:     hidden_group_size_y
      - .offset:         64
        .size:           2
        .value_kind:     hidden_group_size_z
      - .offset:         66
        .size:           2
        .value_kind:     hidden_remainder_x
      - .offset:         68
        .size:           2
        .value_kind:     hidden_remainder_y
      - .offset:         70
        .size:           2
        .value_kind:     hidden_remainder_z
      - .offset:         88
        .size:           8
        .value_kind:     hidden_global_offset_x
      - .offset:         96
        .size:           8
        .value_kind:     hidden_global_offset_y
      - .offset:         104
        .size:           8
        .value_kind:     hidden_global_offset_z
      - .offset:         112
        .size:           2
        .value_kind:     hidden_grid_dims
      - .offset:         168
        .size:           4
        .value_kind:     hidden_dynamic_lds_size
    .group_segment_fixed_size: 0
    .kernarg_segment_align: 8
    .kernarg_segment_size: 304
    .language:       OpenCL C
    .language_version:
      - 2
      - 0
    .max_flat_workgroup_size: 1024
    .name:           _ZN2at6native32tensor_kernel_scan_innermost_dimIdSt10multipliesIdEEEvPT_PKS4_jjjS4_T0_
    .private_segment_fixed_size: 0
    .sgpr_count:     39
    .sgpr_spill_count: 0
    .symbol:         _ZN2at6native32tensor_kernel_scan_innermost_dimIdSt10multipliesIdEEEvPT_PKS4_jjjS4_T0_.kd
    .uniform_work_group_size: 1
    .uses_dynamic_stack: false
    .vgpr_count:     21
    .vgpr_spill_count: 0
    .wavefront_size: 64
  - .args:
      - .address_space:  global
        .offset:         0
        .size:           8
        .value_kind:     global_buffer
      - .address_space:  global
        .offset:         8
        .size:           8
        .value_kind:     global_buffer
      - .offset:         16
        .size:           4
        .value_kind:     by_value
      - .offset:         20
        .size:           4
        .value_kind:     by_value
      - .offset:         24
        .size:           4
        .value_kind:     by_value
      - .offset:         32
        .size:           8
        .value_kind:     by_value
      - .offset:         40
        .size:           1
        .value_kind:     by_value
      - .offset:         48
        .size:           4
        .value_kind:     hidden_block_count_x
      - .offset:         52
        .size:           4
        .value_kind:     hidden_block_count_y
      - .offset:         56
        .size:           4
        .value_kind:     hidden_block_count_z
      - .offset:         60
        .size:           2
        .value_kind:     hidden_group_size_x
      - .offset:         62
        .size:           2
        .value_kind:     hidden_group_size_y
      - .offset:         64
        .size:           2
        .value_kind:     hidden_group_size_z
      - .offset:         66
        .size:           2
        .value_kind:     hidden_remainder_x
      - .offset:         68
        .size:           2
        .value_kind:     hidden_remainder_y
      - .offset:         70
        .size:           2
        .value_kind:     hidden_remainder_z
      - .offset:         88
        .size:           8
        .value_kind:     hidden_global_offset_x
      - .offset:         96
        .size:           8
        .value_kind:     hidden_global_offset_y
      - .offset:         104
        .size:           8
        .value_kind:     hidden_global_offset_z
      - .offset:         112
        .size:           2
        .value_kind:     hidden_grid_dims
    .group_segment_fixed_size: 0
    .kernarg_segment_align: 8
    .kernarg_segment_size: 304
    .language:       OpenCL C
    .language_version:
      - 2
      - 0
    .max_flat_workgroup_size: 1024
    .name:           _ZN2at6native28tensor_kernel_scan_outer_dimIdjSt10multipliesIdEEEvPT_PKS4_jjjS4_T1_
    .private_segment_fixed_size: 0
    .sgpr_count:     38
    .sgpr_spill_count: 0
    .symbol:         _ZN2at6native28tensor_kernel_scan_outer_dimIdjSt10multipliesIdEEEvPT_PKS4_jjjS4_T1_.kd
    .uniform_work_group_size: 1
    .uses_dynamic_stack: false
    .vgpr_count:     12
    .vgpr_spill_count: 0
    .wavefront_size: 64
  - .args:
      - .address_space:  global
        .offset:         0
        .size:           8
        .value_kind:     global_buffer
      - .address_space:  global
        .offset:         8
        .size:           8
        .value_kind:     global_buffer
      - .offset:         16
        .size:           4
        .value_kind:     by_value
      - .offset:         20
        .size:           4
        .value_kind:     by_value
      - .offset:         24
        .size:           4
        .value_kind:     by_value
      - .offset:         32
        .size:           8
        .value_kind:     by_value
      - .offset:         40
        .size:           1
        .value_kind:     by_value
      - .offset:         48
        .size:           4
        .value_kind:     hidden_block_count_x
      - .offset:         52
        .size:           4
        .value_kind:     hidden_block_count_y
      - .offset:         56
        .size:           4
        .value_kind:     hidden_block_count_z
      - .offset:         60
        .size:           2
        .value_kind:     hidden_group_size_x
      - .offset:         62
        .size:           2
        .value_kind:     hidden_group_size_y
      - .offset:         64
        .size:           2
        .value_kind:     hidden_group_size_z
      - .offset:         66
        .size:           2
        .value_kind:     hidden_remainder_x
      - .offset:         68
        .size:           2
        .value_kind:     hidden_remainder_y
      - .offset:         70
        .size:           2
        .value_kind:     hidden_remainder_z
      - .offset:         88
        .size:           8
        .value_kind:     hidden_global_offset_x
      - .offset:         96
        .size:           8
        .value_kind:     hidden_global_offset_y
      - .offset:         104
        .size:           8
        .value_kind:     hidden_global_offset_z
      - .offset:         112
        .size:           2
        .value_kind:     hidden_grid_dims
    .group_segment_fixed_size: 0
    .kernarg_segment_align: 8
    .kernarg_segment_size: 304
    .language:       OpenCL C
    .language_version:
      - 2
      - 0
    .max_flat_workgroup_size: 1024
    .name:           _ZN2at6native28tensor_kernel_scan_outer_dimIdmSt10multipliesIdEEEvPT_PKS4_jjjS4_T1_
    .private_segment_fixed_size: 0
    .sgpr_count:     36
    .sgpr_spill_count: 0
    .symbol:         _ZN2at6native28tensor_kernel_scan_outer_dimIdmSt10multipliesIdEEEvPT_PKS4_jjjS4_T1_.kd
    .uniform_work_group_size: 1
    .uses_dynamic_stack: false
    .vgpr_count:     12
    .vgpr_spill_count: 0
    .wavefront_size: 64
  - .args:
      - .address_space:  global
        .offset:         0
        .size:           8
        .value_kind:     global_buffer
      - .offset:         8
        .size:           4
        .value_kind:     by_value
      - .offset:         12
        .size:           4
        .value_kind:     by_value
      - .address_space:  global
        .offset:         16
        .size:           8
        .value_kind:     global_buffer
      - .offset:         24
        .size:           4
        .value_kind:     hidden_block_count_x
      - .offset:         28
        .size:           4
        .value_kind:     hidden_block_count_y
      - .offset:         32
        .size:           4
        .value_kind:     hidden_block_count_z
      - .offset:         36
        .size:           2
        .value_kind:     hidden_group_size_x
      - .offset:         38
        .size:           2
        .value_kind:     hidden_group_size_y
      - .offset:         40
        .size:           2
        .value_kind:     hidden_group_size_z
      - .offset:         42
        .size:           2
        .value_kind:     hidden_remainder_x
      - .offset:         44
        .size:           2
        .value_kind:     hidden_remainder_y
      - .offset:         46
        .size:           2
        .value_kind:     hidden_remainder_z
      - .offset:         64
        .size:           8
        .value_kind:     hidden_global_offset_x
      - .offset:         72
        .size:           8
        .value_kind:     hidden_global_offset_y
      - .offset:         80
        .size:           8
        .value_kind:     hidden_global_offset_z
      - .offset:         88
        .size:           2
        .value_kind:     hidden_grid_dims
    .group_segment_fixed_size: 0
    .kernarg_segment_align: 8
    .kernarg_segment_size: 280
    .language:       OpenCL C
    .language_version:
      - 2
      - 0
    .max_flat_workgroup_size: 256
    .name:           _ZN7rocprim17ROCPRIM_304000_NS6detail31init_lookback_scan_state_kernelINS1_19lookback_scan_stateIfLb1ELb1EEEEEvT_jjPNS5_10value_typeE
    .private_segment_fixed_size: 0
    .sgpr_count:     16
    .sgpr_spill_count: 0
    .symbol:         _ZN7rocprim17ROCPRIM_304000_NS6detail31init_lookback_scan_state_kernelINS1_19lookback_scan_stateIfLb1ELb1EEEEEvT_jjPNS5_10value_typeE.kd
    .uniform_work_group_size: 1
    .uses_dynamic_stack: false
    .vgpr_count:     6
    .vgpr_spill_count: 0
    .wavefront_size: 64
  - .args:
      - .address_space:  global
        .offset:         0
        .size:           8
        .value_kind:     global_buffer
      - .offset:         8
        .size:           4
        .value_kind:     by_value
      - .offset:         12
        .size:           4
        .value_kind:     by_value
      - .address_space:  global
        .offset:         16
        .size:           8
        .value_kind:     global_buffer
      - .offset:         24
        .size:           4
        .value_kind:     hidden_block_count_x
      - .offset:         28
        .size:           4
        .value_kind:     hidden_block_count_y
      - .offset:         32
        .size:           4
        .value_kind:     hidden_block_count_z
      - .offset:         36
        .size:           2
        .value_kind:     hidden_group_size_x
      - .offset:         38
        .size:           2
        .value_kind:     hidden_group_size_y
      - .offset:         40
        .size:           2
        .value_kind:     hidden_group_size_z
      - .offset:         42
        .size:           2
        .value_kind:     hidden_remainder_x
      - .offset:         44
        .size:           2
        .value_kind:     hidden_remainder_y
      - .offset:         46
        .size:           2
        .value_kind:     hidden_remainder_z
      - .offset:         64
        .size:           8
        .value_kind:     hidden_global_offset_x
      - .offset:         72
        .size:           8
        .value_kind:     hidden_global_offset_y
      - .offset:         80
        .size:           8
        .value_kind:     hidden_global_offset_z
      - .offset:         88
        .size:           2
        .value_kind:     hidden_grid_dims
    .group_segment_fixed_size: 0
    .kernarg_segment_align: 8
    .kernarg_segment_size: 280
    .language:       OpenCL C
    .language_version:
      - 2
      - 0
    .max_flat_workgroup_size: 256
    .name:           _ZN7rocprim17ROCPRIM_304000_NS6detail31init_lookback_scan_state_kernelINS1_19lookback_scan_stateIfLb0ELb1EEEEEvT_jjPNS5_10value_typeE
    .private_segment_fixed_size: 0
    .sgpr_count:     14
    .sgpr_spill_count: 0
    .symbol:         _ZN7rocprim17ROCPRIM_304000_NS6detail31init_lookback_scan_state_kernelINS1_19lookback_scan_stateIfLb0ELb1EEEEEvT_jjPNS5_10value_typeE.kd
    .uniform_work_group_size: 1
    .uses_dynamic_stack: false
    .vgpr_count:     6
    .vgpr_spill_count: 0
    .wavefront_size: 64
  - .args:
      - .address_space:  global
        .offset:         0
        .size:           8
        .value_kind:     global_buffer
      - .address_space:  global
        .offset:         8
        .size:           8
        .value_kind:     global_buffer
      - .offset:         16
        .size:           8
        .value_kind:     by_value
      - .offset:         24
        .size:           4
        .value_kind:     by_value
      - .offset:         28
        .size:           1
        .value_kind:     by_value
      - .address_space:  global
        .offset:         32
        .size:           8
        .value_kind:     global_buffer
      - .offset:         40
        .size:           4
        .value_kind:     by_value
      - .address_space:  global
        .offset:         48
        .size:           8
        .value_kind:     global_buffer
      - .address_space:  global
        .offset:         56
        .size:           8
        .value_kind:     global_buffer
      - .offset:         64
        .size:           1
        .value_kind:     by_value
      - .offset:         65
        .size:           1
        .value_kind:     by_value
    .group_segment_fixed_size: 0
    .kernarg_segment_align: 8
    .kernarg_segment_size: 68
    .language:       OpenCL C
    .language_version:
      - 2
      - 0
    .max_flat_workgroup_size: 256
    .name:           _ZN7rocprim17ROCPRIM_304000_NS6detail20lookback_scan_kernelILNS1_25lookback_scan_determinismE0ELb0ENS1_19wrapped_scan_configINS0_14default_configEfEEPKfPfSt10multipliesIfEffNS1_19lookback_scan_stateIfLb1ELb1EEEEEvT2_T3_mT5_T4_T7_jPT6_SK_bb
    .private_segment_fixed_size: 0
    .sgpr_count:     4
    .sgpr_spill_count: 0
    .symbol:         _ZN7rocprim17ROCPRIM_304000_NS6detail20lookback_scan_kernelILNS1_25lookback_scan_determinismE0ELb0ENS1_19wrapped_scan_configINS0_14default_configEfEEPKfPfSt10multipliesIfEffNS1_19lookback_scan_stateIfLb1ELb1EEEEEvT2_T3_mT5_T4_T7_jPT6_SK_bb.kd
    .uniform_work_group_size: 1
    .uses_dynamic_stack: false
    .vgpr_count:     0
    .vgpr_spill_count: 0
    .wavefront_size: 64
  - .args:
      - .address_space:  global
        .offset:         0
        .size:           8
        .value_kind:     global_buffer
      - .address_space:  global
        .offset:         8
        .size:           8
        .value_kind:     global_buffer
      - .offset:         16
        .size:           8
        .value_kind:     by_value
      - .offset:         24
        .size:           4
        .value_kind:     by_value
      - .offset:         28
        .size:           1
        .value_kind:     by_value
      - .address_space:  global
        .offset:         32
        .size:           8
        .value_kind:     global_buffer
      - .offset:         40
        .size:           4
        .value_kind:     by_value
      - .address_space:  global
        .offset:         48
        .size:           8
        .value_kind:     global_buffer
      - .address_space:  global
        .offset:         56
        .size:           8
        .value_kind:     global_buffer
      - .offset:         64
        .size:           1
        .value_kind:     by_value
      - .offset:         65
        .size:           1
        .value_kind:     by_value
    .group_segment_fixed_size: 15360
    .kernarg_segment_align: 8
    .kernarg_segment_size: 68
    .language:       OpenCL C
    .language_version:
      - 2
      - 0
    .max_flat_workgroup_size: 256
    .name:           _ZN7rocprim17ROCPRIM_304000_NS6detail20lookback_scan_kernelILNS1_25lookback_scan_determinismE0ELb0ENS1_19wrapped_scan_configINS0_14default_configEfEEPKfPfSt10multipliesIfEffNS1_19lookback_scan_stateIfLb0ELb1EEEEEvT2_T3_mT5_T4_T7_jPT6_SK_bb
    .private_segment_fixed_size: 0
    .sgpr_count:     36
    .sgpr_spill_count: 0
    .symbol:         _ZN7rocprim17ROCPRIM_304000_NS6detail20lookback_scan_kernelILNS1_25lookback_scan_determinismE0ELb0ENS1_19wrapped_scan_configINS0_14default_configEfEEPKfPfSt10multipliesIfEffNS1_19lookback_scan_stateIfLb0ELb1EEEEEvT2_T3_mT5_T4_T7_jPT6_SK_bb.kd
    .uniform_work_group_size: 1
    .uses_dynamic_stack: false
    .vgpr_count:     47
    .vgpr_spill_count: 0
    .wavefront_size: 64
  - .args:
      - .address_space:  global
        .offset:         0
        .size:           8
        .value_kind:     global_buffer
      - .offset:         8
        .size:           8
        .value_kind:     by_value
      - .address_space:  global
        .offset:         16
        .size:           8
        .value_kind:     global_buffer
      - .offset:         24
        .size:           1
        .value_kind:     by_value
      - .offset:         32
        .size:           4
        .value_kind:     hidden_block_count_x
      - .offset:         36
        .size:           4
        .value_kind:     hidden_block_count_y
      - .offset:         40
        .size:           4
        .value_kind:     hidden_block_count_z
      - .offset:         44
        .size:           2
        .value_kind:     hidden_group_size_x
      - .offset:         46
        .size:           2
        .value_kind:     hidden_group_size_y
      - .offset:         48
        .size:           2
        .value_kind:     hidden_group_size_z
      - .offset:         50
        .size:           2
        .value_kind:     hidden_remainder_x
      - .offset:         52
        .size:           2
        .value_kind:     hidden_remainder_y
      - .offset:         54
        .size:           2
        .value_kind:     hidden_remainder_z
      - .offset:         72
        .size:           8
        .value_kind:     hidden_global_offset_x
      - .offset:         80
        .size:           8
        .value_kind:     hidden_global_offset_y
      - .offset:         88
        .size:           8
        .value_kind:     hidden_global_offset_z
      - .offset:         96
        .size:           2
        .value_kind:     hidden_grid_dims
    .group_segment_fixed_size: 0
    .kernarg_segment_align: 8
    .kernarg_segment_size: 288
    .language:       OpenCL C
    .language_version:
      - 2
      - 0
    .max_flat_workgroup_size: 1024
    .name:           _ZN7rocprim17ROCPRIM_304000_NS6detail16transform_kernelINS1_24wrapped_transform_configINS0_14default_configEfEEfPfS6_NS0_8identityIfEEEEvT1_mT2_T3_
    .private_segment_fixed_size: 0
    .sgpr_count:     16
    .sgpr_spill_count: 0
    .symbol:         _ZN7rocprim17ROCPRIM_304000_NS6detail16transform_kernelINS1_24wrapped_transform_configINS0_14default_configEfEEfPfS6_NS0_8identityIfEEEEvT1_mT2_T3_.kd
    .uniform_work_group_size: 1
    .uses_dynamic_stack: false
    .vgpr_count:     8
    .vgpr_spill_count: 0
    .wavefront_size: 64
  - .args:
      - .address_space:  global
        .offset:         0
        .size:           8
        .value_kind:     global_buffer
      - .offset:         8
        .size:           8
        .value_kind:     by_value
      - .offset:         16
        .size:           4
        .value_kind:     by_value
      - .address_space:  global
        .offset:         24
        .size:           8
        .value_kind:     global_buffer
      - .offset:         32
        .size:           1
        .value_kind:     by_value
    .group_segment_fixed_size: 15360
    .kernarg_segment_align: 8
    .kernarg_segment_size: 36
    .language:       OpenCL C
    .language_version:
      - 2
      - 0
    .max_flat_workgroup_size: 256
    .name:           _ZN7rocprim17ROCPRIM_304000_NS6detail18single_scan_kernelILb0ENS1_19wrapped_scan_configINS0_14default_configEfEEPKfPfSt10multipliesIfEffEEvT1_mT4_T2_T3_
    .private_segment_fixed_size: 0
    .sgpr_count:     40
    .sgpr_spill_count: 0
    .symbol:         _ZN7rocprim17ROCPRIM_304000_NS6detail18single_scan_kernelILb0ENS1_19wrapped_scan_configINS0_14default_configEfEEPKfPfSt10multipliesIfEffEEvT1_mT4_T2_T3_.kd
    .uniform_work_group_size: 1
    .uses_dynamic_stack: false
    .vgpr_count:     23
    .vgpr_spill_count: 0
    .wavefront_size: 64
  - .args:
      - .address_space:  global
        .offset:         0
        .size:           8
        .value_kind:     global_buffer
      - .address_space:  global
        .offset:         8
        .size:           8
        .value_kind:     global_buffer
      - .offset:         16
        .size:           4
        .value_kind:     by_value
      - .offset:         20
        .size:           4
        .value_kind:     by_value
      - .offset:         24
        .size:           4
        .value_kind:     by_value
      - .offset:         28
        .size:           4
        .value_kind:     by_value
      - .offset:         32
        .size:           1
        .value_kind:     by_value
      - .offset:         40
        .size:           4
        .value_kind:     hidden_block_count_x
      - .offset:         44
        .size:           4
        .value_kind:     hidden_block_count_y
      - .offset:         48
        .size:           4
        .value_kind:     hidden_block_count_z
      - .offset:         52
        .size:           2
        .value_kind:     hidden_group_size_x
      - .offset:         54
        .size:           2
        .value_kind:     hidden_group_size_y
      - .offset:         56
        .size:           2
        .value_kind:     hidden_group_size_z
      - .offset:         58
        .size:           2
        .value_kind:     hidden_remainder_x
      - .offset:         60
        .size:           2
        .value_kind:     hidden_remainder_y
      - .offset:         62
        .size:           2
        .value_kind:     hidden_remainder_z
      - .offset:         80
        .size:           8
        .value_kind:     hidden_global_offset_x
      - .offset:         88
        .size:           8
        .value_kind:     hidden_global_offset_y
      - .offset:         96
        .size:           8
        .value_kind:     hidden_global_offset_z
      - .offset:         104
        .size:           2
        .value_kind:     hidden_grid_dims
      - .offset:         160
        .size:           4
        .value_kind:     hidden_dynamic_lds_size
    .group_segment_fixed_size: 0
    .kernarg_segment_align: 8
    .kernarg_segment_size: 296
    .language:       OpenCL C
    .language_version:
      - 2
      - 0
    .max_flat_workgroup_size: 1024
    .name:           _ZN2at6native32tensor_kernel_scan_innermost_dimIfSt10multipliesIfEEEvPT_PKS4_jjjS4_T0_
    .private_segment_fixed_size: 0
    .sgpr_count:     38
    .sgpr_spill_count: 0
    .symbol:         _ZN2at6native32tensor_kernel_scan_innermost_dimIfSt10multipliesIfEEEvPT_PKS4_jjjS4_T0_.kd
    .uniform_work_group_size: 1
    .uses_dynamic_stack: false
    .vgpr_count:     20
    .vgpr_spill_count: 0
    .wavefront_size: 64
  - .args:
      - .address_space:  global
        .offset:         0
        .size:           8
        .value_kind:     global_buffer
      - .address_space:  global
        .offset:         8
        .size:           8
        .value_kind:     global_buffer
      - .offset:         16
        .size:           4
        .value_kind:     by_value
      - .offset:         20
        .size:           4
        .value_kind:     by_value
      - .offset:         24
        .size:           4
        .value_kind:     by_value
      - .offset:         28
        .size:           4
        .value_kind:     by_value
      - .offset:         32
        .size:           1
        .value_kind:     by_value
      - .offset:         40
        .size:           4
        .value_kind:     hidden_block_count_x
      - .offset:         44
        .size:           4
        .value_kind:     hidden_block_count_y
      - .offset:         48
        .size:           4
        .value_kind:     hidden_block_count_z
      - .offset:         52
        .size:           2
        .value_kind:     hidden_group_size_x
      - .offset:         54
        .size:           2
        .value_kind:     hidden_group_size_y
      - .offset:         56
        .size:           2
        .value_kind:     hidden_group_size_z
      - .offset:         58
        .size:           2
        .value_kind:     hidden_remainder_x
      - .offset:         60
        .size:           2
        .value_kind:     hidden_remainder_y
      - .offset:         62
        .size:           2
        .value_kind:     hidden_remainder_z
      - .offset:         80
        .size:           8
        .value_kind:     hidden_global_offset_x
      - .offset:         88
        .size:           8
        .value_kind:     hidden_global_offset_y
      - .offset:         96
        .size:           8
        .value_kind:     hidden_global_offset_z
      - .offset:         104
        .size:           2
        .value_kind:     hidden_grid_dims
    .group_segment_fixed_size: 0
    .kernarg_segment_align: 8
    .kernarg_segment_size: 296
    .language:       OpenCL C
    .language_version:
      - 2
      - 0
    .max_flat_workgroup_size: 1024
    .name:           _ZN2at6native28tensor_kernel_scan_outer_dimIfjSt10multipliesIfEEEvPT_PKS4_jjjS4_T1_
    .private_segment_fixed_size: 0
    .sgpr_count:     36
    .sgpr_spill_count: 0
    .symbol:         _ZN2at6native28tensor_kernel_scan_outer_dimIfjSt10multipliesIfEEEvPT_PKS4_jjjS4_T1_.kd
    .uniform_work_group_size: 1
    .uses_dynamic_stack: false
    .vgpr_count:     10
    .vgpr_spill_count: 0
    .wavefront_size: 64
  - .args:
      - .address_space:  global
        .offset:         0
        .size:           8
        .value_kind:     global_buffer
      - .address_space:  global
        .offset:         8
        .size:           8
        .value_kind:     global_buffer
      - .offset:         16
        .size:           4
        .value_kind:     by_value
      - .offset:         20
        .size:           4
        .value_kind:     by_value
      - .offset:         24
        .size:           4
        .value_kind:     by_value
      - .offset:         28
        .size:           4
        .value_kind:     by_value
      - .offset:         32
        .size:           1
        .value_kind:     by_value
      - .offset:         40
        .size:           4
        .value_kind:     hidden_block_count_x
      - .offset:         44
        .size:           4
        .value_kind:     hidden_block_count_y
      - .offset:         48
        .size:           4
        .value_kind:     hidden_block_count_z
      - .offset:         52
        .size:           2
        .value_kind:     hidden_group_size_x
      - .offset:         54
        .size:           2
        .value_kind:     hidden_group_size_y
      - .offset:         56
        .size:           2
        .value_kind:     hidden_group_size_z
      - .offset:         58
        .size:           2
        .value_kind:     hidden_remainder_x
      - .offset:         60
        .size:           2
        .value_kind:     hidden_remainder_y
      - .offset:         62
        .size:           2
        .value_kind:     hidden_remainder_z
      - .offset:         80
        .size:           8
        .value_kind:     hidden_global_offset_x
      - .offset:         88
        .size:           8
        .value_kind:     hidden_global_offset_y
      - .offset:         96
        .size:           8
        .value_kind:     hidden_global_offset_z
      - .offset:         104
        .size:           2
        .value_kind:     hidden_grid_dims
    .group_segment_fixed_size: 0
    .kernarg_segment_align: 8
    .kernarg_segment_size: 296
    .language:       OpenCL C
    .language_version:
      - 2
      - 0
    .max_flat_workgroup_size: 1024
    .name:           _ZN2at6native28tensor_kernel_scan_outer_dimIfmSt10multipliesIfEEEvPT_PKS4_jjjS4_T1_
    .private_segment_fixed_size: 0
    .sgpr_count:     35
    .sgpr_spill_count: 0
    .symbol:         _ZN2at6native28tensor_kernel_scan_outer_dimIfmSt10multipliesIfEEEvPT_PKS4_jjjS4_T1_.kd
    .uniform_work_group_size: 1
    .uses_dynamic_stack: false
    .vgpr_count:     10
    .vgpr_spill_count: 0
    .wavefront_size: 64
  - .args:
      - .offset:         0
        .size:           24
        .value_kind:     by_value
      - .offset:         24
        .size:           4
        .value_kind:     by_value
      - .offset:         28
        .size:           4
        .value_kind:     by_value
      - .address_space:  global
        .offset:         32
        .size:           8
        .value_kind:     global_buffer
      - .offset:         40
        .size:           4
        .value_kind:     hidden_block_count_x
      - .offset:         44
        .size:           4
        .value_kind:     hidden_block_count_y
      - .offset:         48
        .size:           4
        .value_kind:     hidden_block_count_z
      - .offset:         52
        .size:           2
        .value_kind:     hidden_group_size_x
      - .offset:         54
        .size:           2
        .value_kind:     hidden_group_size_y
      - .offset:         56
        .size:           2
        .value_kind:     hidden_group_size_z
      - .offset:         58
        .size:           2
        .value_kind:     hidden_remainder_x
      - .offset:         60
        .size:           2
        .value_kind:     hidden_remainder_y
      - .offset:         62
        .size:           2
        .value_kind:     hidden_remainder_z
      - .offset:         80
        .size:           8
        .value_kind:     hidden_global_offset_x
      - .offset:         88
        .size:           8
        .value_kind:     hidden_global_offset_y
      - .offset:         96
        .size:           8
        .value_kind:     hidden_global_offset_z
      - .offset:         104
        .size:           2
        .value_kind:     hidden_grid_dims
    .group_segment_fixed_size: 0
    .kernarg_segment_align: 8
    .kernarg_segment_size: 296
    .language:       OpenCL C
    .language_version:
      - 2
      - 0
    .max_flat_workgroup_size: 256
    .name:           _ZN7rocprim17ROCPRIM_304000_NS6detail31init_lookback_scan_state_kernelINS1_19lookback_scan_stateIN3c107complexIdEELb1ELb0EEEEEvT_jjPNS8_10value_typeE
    .private_segment_fixed_size: 0
    .sgpr_count:     22
    .sgpr_spill_count: 0
    .symbol:         _ZN7rocprim17ROCPRIM_304000_NS6detail31init_lookback_scan_state_kernelINS1_19lookback_scan_stateIN3c107complexIdEELb1ELb0EEEEEvT_jjPNS8_10value_typeE.kd
    .uniform_work_group_size: 1
    .uses_dynamic_stack: false
    .vgpr_count:     6
    .vgpr_spill_count: 0
    .wavefront_size: 64
  - .args:
      - .offset:         0
        .size:           24
        .value_kind:     by_value
      - .offset:         24
        .size:           4
        .value_kind:     by_value
      - .offset:         28
        .size:           4
        .value_kind:     by_value
      - .address_space:  global
        .offset:         32
        .size:           8
        .value_kind:     global_buffer
      - .offset:         40
        .size:           4
        .value_kind:     hidden_block_count_x
      - .offset:         44
        .size:           4
        .value_kind:     hidden_block_count_y
      - .offset:         48
        .size:           4
        .value_kind:     hidden_block_count_z
      - .offset:         52
        .size:           2
        .value_kind:     hidden_group_size_x
      - .offset:         54
        .size:           2
        .value_kind:     hidden_group_size_y
      - .offset:         56
        .size:           2
        .value_kind:     hidden_group_size_z
      - .offset:         58
        .size:           2
        .value_kind:     hidden_remainder_x
      - .offset:         60
        .size:           2
        .value_kind:     hidden_remainder_y
      - .offset:         62
        .size:           2
        .value_kind:     hidden_remainder_z
      - .offset:         80
        .size:           8
        .value_kind:     hidden_global_offset_x
      - .offset:         88
        .size:           8
        .value_kind:     hidden_global_offset_y
      - .offset:         96
        .size:           8
        .value_kind:     hidden_global_offset_z
      - .offset:         104
        .size:           2
        .value_kind:     hidden_grid_dims
    .group_segment_fixed_size: 0
    .kernarg_segment_align: 8
    .kernarg_segment_size: 296
    .language:       OpenCL C
    .language_version:
      - 2
      - 0
    .max_flat_workgroup_size: 256
    .name:           _ZN7rocprim17ROCPRIM_304000_NS6detail31init_lookback_scan_state_kernelINS1_19lookback_scan_stateIN3c107complexIdEELb0ELb0EEEEEvT_jjPNS8_10value_typeE
    .private_segment_fixed_size: 0
    .sgpr_count:     22
    .sgpr_spill_count: 0
    .symbol:         _ZN7rocprim17ROCPRIM_304000_NS6detail31init_lookback_scan_state_kernelINS1_19lookback_scan_stateIN3c107complexIdEELb0ELb0EEEEEvT_jjPNS8_10value_typeE.kd
    .uniform_work_group_size: 1
    .uses_dynamic_stack: false
    .vgpr_count:     6
    .vgpr_spill_count: 0
    .wavefront_size: 64
  - .args:
      - .address_space:  global
        .offset:         0
        .size:           8
        .value_kind:     global_buffer
      - .address_space:  global
        .offset:         8
        .size:           8
        .value_kind:     global_buffer
      - .offset:         16
        .size:           8
        .value_kind:     by_value
      - .offset:         32
        .size:           16
        .value_kind:     by_value
      - .offset:         48
        .size:           1
        .value_kind:     by_value
      - .offset:         56
        .size:           24
        .value_kind:     by_value
      - .offset:         80
        .size:           4
        .value_kind:     by_value
      - .address_space:  global
        .offset:         88
        .size:           8
        .value_kind:     global_buffer
      - .address_space:  global
        .offset:         96
        .size:           8
        .value_kind:     global_buffer
      - .offset:         104
        .size:           1
        .value_kind:     by_value
      - .offset:         105
        .size:           1
        .value_kind:     by_value
    .group_segment_fixed_size: 0
    .kernarg_segment_align: 16
    .kernarg_segment_size: 108
    .language:       OpenCL C
    .language_version:
      - 2
      - 0
    .max_flat_workgroup_size: 64
    .name:           _ZN7rocprim17ROCPRIM_304000_NS6detail20lookback_scan_kernelILNS1_25lookback_scan_determinismE0ELb0ENS1_19wrapped_scan_configINS0_14default_configEN3c107complexIdEEEEPKS8_PS8_St10multipliesIS8_ES8_S8_NS1_19lookback_scan_stateIS8_Lb1ELb0EEEEEvT2_T3_mT5_T4_T7_jPT6_SN_bb
    .private_segment_fixed_size: 0
    .sgpr_count:     4
    .sgpr_spill_count: 0
    .symbol:         _ZN7rocprim17ROCPRIM_304000_NS6detail20lookback_scan_kernelILNS1_25lookback_scan_determinismE0ELb0ENS1_19wrapped_scan_configINS0_14default_configEN3c107complexIdEEEEPKS8_PS8_St10multipliesIS8_ES8_S8_NS1_19lookback_scan_stateIS8_Lb1ELb0EEEEEvT2_T3_mT5_T4_T7_jPT6_SN_bb.kd
    .uniform_work_group_size: 1
    .uses_dynamic_stack: false
    .vgpr_count:     0
    .vgpr_spill_count: 0
    .wavefront_size: 64
  - .args:
      - .address_space:  global
        .offset:         0
        .size:           8
        .value_kind:     global_buffer
      - .address_space:  global
        .offset:         8
        .size:           8
        .value_kind:     global_buffer
      - .offset:         16
        .size:           8
        .value_kind:     by_value
      - .offset:         32
        .size:           16
        .value_kind:     by_value
      - .offset:         48
        .size:           1
        .value_kind:     by_value
      - .offset:         56
        .size:           24
        .value_kind:     by_value
      - .offset:         80
        .size:           4
        .value_kind:     by_value
      - .address_space:  global
        .offset:         88
        .size:           8
        .value_kind:     global_buffer
      - .address_space:  global
        .offset:         96
        .size:           8
        .value_kind:     global_buffer
      - .offset:         104
        .size:           1
        .value_kind:     by_value
      - .offset:         105
        .size:           1
        .value_kind:     by_value
    .group_segment_fixed_size: 15360
    .kernarg_segment_align: 16
    .kernarg_segment_size: 108
    .language:       OpenCL C
    .language_version:
      - 2
      - 0
    .max_flat_workgroup_size: 64
    .name:           _ZN7rocprim17ROCPRIM_304000_NS6detail20lookback_scan_kernelILNS1_25lookback_scan_determinismE0ELb0ENS1_19wrapped_scan_configINS0_14default_configEN3c107complexIdEEEEPKS8_PS8_St10multipliesIS8_ES8_S8_NS1_19lookback_scan_stateIS8_Lb0ELb0EEEEEvT2_T3_mT5_T4_T7_jPT6_SN_bb
    .private_segment_fixed_size: 0
    .sgpr_count:     32
    .sgpr_spill_count: 0
    .symbol:         _ZN7rocprim17ROCPRIM_304000_NS6detail20lookback_scan_kernelILNS1_25lookback_scan_determinismE0ELb0ENS1_19wrapped_scan_configINS0_14default_configEN3c107complexIdEEEEPKS8_PS8_St10multipliesIS8_ES8_S8_NS1_19lookback_scan_stateIS8_Lb0ELb0EEEEEvT2_T3_mT5_T4_T7_jPT6_SN_bb.kd
    .uniform_work_group_size: 1
    .uses_dynamic_stack: false
    .vgpr_count:     133
    .vgpr_spill_count: 0
    .wavefront_size: 64
  - .args:
      - .address_space:  global
        .offset:         0
        .size:           8
        .value_kind:     global_buffer
      - .offset:         8
        .size:           8
        .value_kind:     by_value
      - .address_space:  global
        .offset:         16
        .size:           8
        .value_kind:     global_buffer
      - .offset:         24
        .size:           1
        .value_kind:     by_value
      - .offset:         32
        .size:           4
        .value_kind:     hidden_block_count_x
      - .offset:         36
        .size:           4
        .value_kind:     hidden_block_count_y
      - .offset:         40
        .size:           4
        .value_kind:     hidden_block_count_z
      - .offset:         44
        .size:           2
        .value_kind:     hidden_group_size_x
      - .offset:         46
        .size:           2
        .value_kind:     hidden_group_size_y
      - .offset:         48
        .size:           2
        .value_kind:     hidden_group_size_z
      - .offset:         50
        .size:           2
        .value_kind:     hidden_remainder_x
      - .offset:         52
        .size:           2
        .value_kind:     hidden_remainder_y
      - .offset:         54
        .size:           2
        .value_kind:     hidden_remainder_z
      - .offset:         72
        .size:           8
        .value_kind:     hidden_global_offset_x
      - .offset:         80
        .size:           8
        .value_kind:     hidden_global_offset_y
      - .offset:         88
        .size:           8
        .value_kind:     hidden_global_offset_z
      - .offset:         96
        .size:           2
        .value_kind:     hidden_grid_dims
    .group_segment_fixed_size: 0
    .kernarg_segment_align: 8
    .kernarg_segment_size: 288
    .language:       OpenCL C
    .language_version:
      - 2
      - 0
    .max_flat_workgroup_size: 1024
    .name:           _ZN7rocprim17ROCPRIM_304000_NS6detail16transform_kernelINS1_24wrapped_transform_configINS0_14default_configEN3c107complexIdEEEES7_PS7_S9_NS0_8identityIS7_EEEEvT1_mT2_T3_
    .private_segment_fixed_size: 0
    .sgpr_count:     14
    .sgpr_spill_count: 0
    .symbol:         _ZN7rocprim17ROCPRIM_304000_NS6detail16transform_kernelINS1_24wrapped_transform_configINS0_14default_configEN3c107complexIdEEEES7_PS7_S9_NS0_8identityIS7_EEEEvT1_mT2_T3_.kd
    .uniform_work_group_size: 1
    .uses_dynamic_stack: false
    .vgpr_count:     5
    .vgpr_spill_count: 0
    .wavefront_size: 64
  - .args:
      - .address_space:  global
        .offset:         0
        .size:           8
        .value_kind:     global_buffer
      - .offset:         8
        .size:           8
        .value_kind:     by_value
      - .offset:         16
        .size:           16
        .value_kind:     by_value
      - .address_space:  global
        .offset:         32
        .size:           8
        .value_kind:     global_buffer
      - .offset:         40
        .size:           1
        .value_kind:     by_value
    .group_segment_fixed_size: 15360
    .kernarg_segment_align: 16
    .kernarg_segment_size: 44
    .language:       OpenCL C
    .language_version:
      - 2
      - 0
    .max_flat_workgroup_size: 64
    .name:           _ZN7rocprim17ROCPRIM_304000_NS6detail18single_scan_kernelILb0ENS1_19wrapped_scan_configINS0_14default_configEN3c107complexIdEEEEPKS7_PS7_St10multipliesIS7_ES7_S7_EEvT1_mT4_T2_T3_
    .private_segment_fixed_size: 0
    .sgpr_count:     44
    .sgpr_spill_count: 0
    .symbol:         _ZN7rocprim17ROCPRIM_304000_NS6detail18single_scan_kernelILb0ENS1_19wrapped_scan_configINS0_14default_configEN3c107complexIdEEEEPKS7_PS7_St10multipliesIS7_ES7_S7_EEvT1_mT4_T2_T3_.kd
    .uniform_work_group_size: 1
    .uses_dynamic_stack: false
    .vgpr_count:     132
    .vgpr_spill_count: 0
    .wavefront_size: 64
  - .args:
      - .address_space:  global
        .offset:         0
        .size:           8
        .value_kind:     global_buffer
      - .address_space:  global
        .offset:         8
        .size:           8
        .value_kind:     global_buffer
      - .offset:         16
        .size:           4
        .value_kind:     by_value
      - .offset:         20
        .size:           4
        .value_kind:     by_value
      - .offset:         24
        .size:           4
        .value_kind:     by_value
      - .offset:         32
        .size:           16
        .value_kind:     by_value
      - .offset:         48
        .size:           1
        .value_kind:     by_value
      - .offset:         56
        .size:           4
        .value_kind:     hidden_block_count_x
      - .offset:         60
        .size:           4
        .value_kind:     hidden_block_count_y
      - .offset:         64
        .size:           4
        .value_kind:     hidden_block_count_z
      - .offset:         68
        .size:           2
        .value_kind:     hidden_group_size_x
      - .offset:         70
        .size:           2
        .value_kind:     hidden_group_size_y
      - .offset:         72
        .size:           2
        .value_kind:     hidden_group_size_z
      - .offset:         74
        .size:           2
        .value_kind:     hidden_remainder_x
      - .offset:         76
        .size:           2
        .value_kind:     hidden_remainder_y
      - .offset:         78
        .size:           2
        .value_kind:     hidden_remainder_z
      - .offset:         96
        .size:           8
        .value_kind:     hidden_global_offset_x
      - .offset:         104
        .size:           8
        .value_kind:     hidden_global_offset_y
      - .offset:         112
        .size:           8
        .value_kind:     hidden_global_offset_z
      - .offset:         120
        .size:           2
        .value_kind:     hidden_grid_dims
      - .offset:         176
        .size:           4
        .value_kind:     hidden_dynamic_lds_size
    .group_segment_fixed_size: 0
    .kernarg_segment_align: 16
    .kernarg_segment_size: 312
    .language:       OpenCL C
    .language_version:
      - 2
      - 0
    .max_flat_workgroup_size: 1024
    .name:           _ZN2at6native32tensor_kernel_scan_innermost_dimIN3c107complexIdEESt10multipliesIS4_EEEvPT_PKS7_jjjS7_T0_
    .private_segment_fixed_size: 0
    .sgpr_count:     41
    .sgpr_spill_count: 0
    .symbol:         _ZN2at6native32tensor_kernel_scan_innermost_dimIN3c107complexIdEESt10multipliesIS4_EEEvPT_PKS7_jjjS7_T0_.kd
    .uniform_work_group_size: 1
    .uses_dynamic_stack: false
    .vgpr_count:     27
    .vgpr_spill_count: 0
    .wavefront_size: 64
  - .args:
      - .address_space:  global
        .offset:         0
        .size:           8
        .value_kind:     global_buffer
      - .address_space:  global
        .offset:         8
        .size:           8
        .value_kind:     global_buffer
      - .offset:         16
        .size:           4
        .value_kind:     by_value
      - .offset:         20
        .size:           4
        .value_kind:     by_value
      - .offset:         24
        .size:           4
        .value_kind:     by_value
      - .offset:         32
        .size:           16
        .value_kind:     by_value
      - .offset:         48
        .size:           1
        .value_kind:     by_value
      - .offset:         56
        .size:           4
        .value_kind:     hidden_block_count_x
      - .offset:         60
        .size:           4
        .value_kind:     hidden_block_count_y
      - .offset:         64
        .size:           4
        .value_kind:     hidden_block_count_z
      - .offset:         68
        .size:           2
        .value_kind:     hidden_group_size_x
      - .offset:         70
        .size:           2
        .value_kind:     hidden_group_size_y
      - .offset:         72
        .size:           2
        .value_kind:     hidden_group_size_z
      - .offset:         74
        .size:           2
        .value_kind:     hidden_remainder_x
      - .offset:         76
        .size:           2
        .value_kind:     hidden_remainder_y
      - .offset:         78
        .size:           2
        .value_kind:     hidden_remainder_z
      - .offset:         96
        .size:           8
        .value_kind:     hidden_global_offset_x
      - .offset:         104
        .size:           8
        .value_kind:     hidden_global_offset_y
      - .offset:         112
        .size:           8
        .value_kind:     hidden_global_offset_z
      - .offset:         120
        .size:           2
        .value_kind:     hidden_grid_dims
    .group_segment_fixed_size: 0
    .kernarg_segment_align: 16
    .kernarg_segment_size: 312
    .language:       OpenCL C
    .language_version:
      - 2
      - 0
    .max_flat_workgroup_size: 1024
    .name:           _ZN2at6native28tensor_kernel_scan_outer_dimIN3c107complexIdEEjSt10multipliesIS4_EEEvPT_PKS7_jjjS7_T1_
    .private_segment_fixed_size: 0
    .sgpr_count:     40
    .sgpr_spill_count: 0
    .symbol:         _ZN2at6native28tensor_kernel_scan_outer_dimIN3c107complexIdEEjSt10multipliesIS4_EEEvPT_PKS7_jjjS7_T1_.kd
    .uniform_work_group_size: 1
    .uses_dynamic_stack: false
    .vgpr_count:     18
    .vgpr_spill_count: 0
    .wavefront_size: 64
  - .args:
      - .address_space:  global
        .offset:         0
        .size:           8
        .value_kind:     global_buffer
      - .address_space:  global
        .offset:         8
        .size:           8
        .value_kind:     global_buffer
      - .offset:         16
        .size:           4
        .value_kind:     by_value
      - .offset:         20
        .size:           4
        .value_kind:     by_value
      - .offset:         24
        .size:           4
        .value_kind:     by_value
      - .offset:         32
        .size:           16
        .value_kind:     by_value
      - .offset:         48
        .size:           1
        .value_kind:     by_value
      - .offset:         56
        .size:           4
        .value_kind:     hidden_block_count_x
      - .offset:         60
        .size:           4
        .value_kind:     hidden_block_count_y
      - .offset:         64
        .size:           4
        .value_kind:     hidden_block_count_z
      - .offset:         68
        .size:           2
        .value_kind:     hidden_group_size_x
      - .offset:         70
        .size:           2
        .value_kind:     hidden_group_size_y
      - .offset:         72
        .size:           2
        .value_kind:     hidden_group_size_z
      - .offset:         74
        .size:           2
        .value_kind:     hidden_remainder_x
      - .offset:         76
        .size:           2
        .value_kind:     hidden_remainder_y
      - .offset:         78
        .size:           2
        .value_kind:     hidden_remainder_z
      - .offset:         96
        .size:           8
        .value_kind:     hidden_global_offset_x
      - .offset:         104
        .size:           8
        .value_kind:     hidden_global_offset_y
      - .offset:         112
        .size:           8
        .value_kind:     hidden_global_offset_z
      - .offset:         120
        .size:           2
        .value_kind:     hidden_grid_dims
    .group_segment_fixed_size: 0
    .kernarg_segment_align: 16
    .kernarg_segment_size: 312
    .language:       OpenCL C
    .language_version:
      - 2
      - 0
    .max_flat_workgroup_size: 1024
    .name:           _ZN2at6native28tensor_kernel_scan_outer_dimIN3c107complexIdEEmSt10multipliesIS4_EEEvPT_PKS7_jjjS7_T1_
    .private_segment_fixed_size: 0
    .sgpr_count:     39
    .sgpr_spill_count: 0
    .symbol:         _ZN2at6native28tensor_kernel_scan_outer_dimIN3c107complexIdEEmSt10multipliesIS4_EEEvPT_PKS7_jjjS7_T1_.kd
    .uniform_work_group_size: 1
    .uses_dynamic_stack: false
    .vgpr_count:     18
    .vgpr_spill_count: 0
    .wavefront_size: 64
  - .args:
      - .address_space:  global
        .offset:         0
        .size:           8
        .value_kind:     global_buffer
      - .offset:         8
        .size:           4
        .value_kind:     by_value
      - .offset:         12
        .size:           4
        .value_kind:     by_value
      - .address_space:  global
        .offset:         16
        .size:           8
        .value_kind:     global_buffer
      - .offset:         24
        .size:           4
        .value_kind:     hidden_block_count_x
      - .offset:         28
        .size:           4
        .value_kind:     hidden_block_count_y
      - .offset:         32
        .size:           4
        .value_kind:     hidden_block_count_z
      - .offset:         36
        .size:           2
        .value_kind:     hidden_group_size_x
      - .offset:         38
        .size:           2
        .value_kind:     hidden_group_size_y
      - .offset:         40
        .size:           2
        .value_kind:     hidden_group_size_z
      - .offset:         42
        .size:           2
        .value_kind:     hidden_remainder_x
      - .offset:         44
        .size:           2
        .value_kind:     hidden_remainder_y
      - .offset:         46
        .size:           2
        .value_kind:     hidden_remainder_z
      - .offset:         64
        .size:           8
        .value_kind:     hidden_global_offset_x
      - .offset:         72
        .size:           8
        .value_kind:     hidden_global_offset_y
      - .offset:         80
        .size:           8
        .value_kind:     hidden_global_offset_z
      - .offset:         88
        .size:           2
        .value_kind:     hidden_grid_dims
    .group_segment_fixed_size: 0
    .kernarg_segment_align: 8
    .kernarg_segment_size: 280
    .language:       OpenCL C
    .language_version:
      - 2
      - 0
    .max_flat_workgroup_size: 256
    .name:           _ZN7rocprim17ROCPRIM_304000_NS6detail31init_lookback_scan_state_kernelINS1_19lookback_scan_stateIN3c107complexIfEELb1ELb1EEEEEvT_jjPNS8_10value_typeE
    .private_segment_fixed_size: 0
    .sgpr_count:     18
    .sgpr_spill_count: 0
    .symbol:         _ZN7rocprim17ROCPRIM_304000_NS6detail31init_lookback_scan_state_kernelINS1_19lookback_scan_stateIN3c107complexIfEELb1ELb1EEEEEvT_jjPNS8_10value_typeE.kd
    .uniform_work_group_size: 1
    .uses_dynamic_stack: false
    .vgpr_count:     8
    .vgpr_spill_count: 0
    .wavefront_size: 64
  - .args:
      - .address_space:  global
        .offset:         0
        .size:           8
        .value_kind:     global_buffer
      - .offset:         8
        .size:           4
        .value_kind:     by_value
      - .offset:         12
        .size:           4
        .value_kind:     by_value
      - .address_space:  global
        .offset:         16
        .size:           8
        .value_kind:     global_buffer
      - .offset:         24
        .size:           4
        .value_kind:     hidden_block_count_x
      - .offset:         28
        .size:           4
        .value_kind:     hidden_block_count_y
      - .offset:         32
        .size:           4
        .value_kind:     hidden_block_count_z
      - .offset:         36
        .size:           2
        .value_kind:     hidden_group_size_x
      - .offset:         38
        .size:           2
        .value_kind:     hidden_group_size_y
      - .offset:         40
        .size:           2
        .value_kind:     hidden_group_size_z
      - .offset:         42
        .size:           2
        .value_kind:     hidden_remainder_x
      - .offset:         44
        .size:           2
        .value_kind:     hidden_remainder_y
      - .offset:         46
        .size:           2
        .value_kind:     hidden_remainder_z
      - .offset:         64
        .size:           8
        .value_kind:     hidden_global_offset_x
      - .offset:         72
        .size:           8
        .value_kind:     hidden_global_offset_y
      - .offset:         80
        .size:           8
        .value_kind:     hidden_global_offset_z
      - .offset:         88
        .size:           2
        .value_kind:     hidden_grid_dims
    .group_segment_fixed_size: 0
    .kernarg_segment_align: 8
    .kernarg_segment_size: 280
    .language:       OpenCL C
    .language_version:
      - 2
      - 0
    .max_flat_workgroup_size: 256
    .name:           _ZN7rocprim17ROCPRIM_304000_NS6detail31init_lookback_scan_state_kernelINS1_19lookback_scan_stateIN3c107complexIfEELb0ELb1EEEEEvT_jjPNS8_10value_typeE
    .private_segment_fixed_size: 0
    .sgpr_count:     18
    .sgpr_spill_count: 0
    .symbol:         _ZN7rocprim17ROCPRIM_304000_NS6detail31init_lookback_scan_state_kernelINS1_19lookback_scan_stateIN3c107complexIfEELb0ELb1EEEEEvT_jjPNS8_10value_typeE.kd
    .uniform_work_group_size: 1
    .uses_dynamic_stack: false
    .vgpr_count:     8
    .vgpr_spill_count: 0
    .wavefront_size: 64
  - .args:
      - .address_space:  global
        .offset:         0
        .size:           8
        .value_kind:     global_buffer
      - .address_space:  global
        .offset:         8
        .size:           8
        .value_kind:     global_buffer
      - .offset:         16
        .size:           8
        .value_kind:     by_value
      - .offset:         24
        .size:           8
        .value_kind:     by_value
      - .offset:         32
        .size:           1
        .value_kind:     by_value
      - .address_space:  global
        .offset:         40
        .size:           8
        .value_kind:     global_buffer
      - .offset:         48
        .size:           4
        .value_kind:     by_value
      - .address_space:  global
        .offset:         56
        .size:           8
        .value_kind:     global_buffer
      - .address_space:  global
        .offset:         64
        .size:           8
        .value_kind:     global_buffer
      - .offset:         72
        .size:           1
        .value_kind:     by_value
      - .offset:         73
        .size:           1
        .value_kind:     by_value
    .group_segment_fixed_size: 0
    .kernarg_segment_align: 8
    .kernarg_segment_size: 76
    .language:       OpenCL C
    .language_version:
      - 2
      - 0
    .max_flat_workgroup_size: 64
    .name:           _ZN7rocprim17ROCPRIM_304000_NS6detail20lookback_scan_kernelILNS1_25lookback_scan_determinismE0ELb0ENS1_19wrapped_scan_configINS0_14default_configEN3c107complexIfEEEEPKS8_PS8_St10multipliesIS8_ES8_S8_NS1_19lookback_scan_stateIS8_Lb1ELb1EEEEEvT2_T3_mT5_T4_T7_jPT6_SN_bb
    .private_segment_fixed_size: 0
    .sgpr_count:     4
    .sgpr_spill_count: 0
    .symbol:         _ZN7rocprim17ROCPRIM_304000_NS6detail20lookback_scan_kernelILNS1_25lookback_scan_determinismE0ELb0ENS1_19wrapped_scan_configINS0_14default_configEN3c107complexIfEEEEPKS8_PS8_St10multipliesIS8_ES8_S8_NS1_19lookback_scan_stateIS8_Lb1ELb1EEEEEvT2_T3_mT5_T4_T7_jPT6_SN_bb.kd
    .uniform_work_group_size: 1
    .uses_dynamic_stack: false
    .vgpr_count:     0
    .vgpr_spill_count: 0
    .wavefront_size: 64
  - .args:
      - .address_space:  global
        .offset:         0
        .size:           8
        .value_kind:     global_buffer
      - .address_space:  global
        .offset:         8
        .size:           8
        .value_kind:     global_buffer
      - .offset:         16
        .size:           8
        .value_kind:     by_value
      - .offset:         24
        .size:           8
        .value_kind:     by_value
      - .offset:         32
        .size:           1
        .value_kind:     by_value
      - .address_space:  global
        .offset:         40
        .size:           8
        .value_kind:     global_buffer
      - .offset:         48
        .size:           4
        .value_kind:     by_value
      - .address_space:  global
        .offset:         56
        .size:           8
        .value_kind:     global_buffer
      - .address_space:  global
        .offset:         64
        .size:           8
        .value_kind:     global_buffer
      - .offset:         72
        .size:           1
        .value_kind:     by_value
      - .offset:         73
        .size:           1
        .value_kind:     by_value
    .group_segment_fixed_size: 7168
    .kernarg_segment_align: 8
    .kernarg_segment_size: 76
    .language:       OpenCL C
    .language_version:
      - 2
      - 0
    .max_flat_workgroup_size: 64
    .name:           _ZN7rocprim17ROCPRIM_304000_NS6detail20lookback_scan_kernelILNS1_25lookback_scan_determinismE0ELb0ENS1_19wrapped_scan_configINS0_14default_configEN3c107complexIfEEEEPKS8_PS8_St10multipliesIS8_ES8_S8_NS1_19lookback_scan_stateIS8_Lb0ELb1EEEEEvT2_T3_mT5_T4_T7_jPT6_SN_bb
    .private_segment_fixed_size: 0
    .sgpr_count:     26
    .sgpr_spill_count: 0
    .symbol:         _ZN7rocprim17ROCPRIM_304000_NS6detail20lookback_scan_kernelILNS1_25lookback_scan_determinismE0ELb0ENS1_19wrapped_scan_configINS0_14default_configEN3c107complexIfEEEEPKS8_PS8_St10multipliesIS8_ES8_S8_NS1_19lookback_scan_stateIS8_Lb0ELb1EEEEEvT2_T3_mT5_T4_T7_jPT6_SN_bb.kd
    .uniform_work_group_size: 1
    .uses_dynamic_stack: false
    .vgpr_count:     63
    .vgpr_spill_count: 0
    .wavefront_size: 64
  - .args:
      - .address_space:  global
        .offset:         0
        .size:           8
        .value_kind:     global_buffer
      - .offset:         8
        .size:           8
        .value_kind:     by_value
      - .address_space:  global
        .offset:         16
        .size:           8
        .value_kind:     global_buffer
      - .offset:         24
        .size:           1
        .value_kind:     by_value
      - .offset:         32
        .size:           4
        .value_kind:     hidden_block_count_x
      - .offset:         36
        .size:           4
        .value_kind:     hidden_block_count_y
      - .offset:         40
        .size:           4
        .value_kind:     hidden_block_count_z
      - .offset:         44
        .size:           2
        .value_kind:     hidden_group_size_x
      - .offset:         46
        .size:           2
        .value_kind:     hidden_group_size_y
      - .offset:         48
        .size:           2
        .value_kind:     hidden_group_size_z
      - .offset:         50
        .size:           2
        .value_kind:     hidden_remainder_x
      - .offset:         52
        .size:           2
        .value_kind:     hidden_remainder_y
      - .offset:         54
        .size:           2
        .value_kind:     hidden_remainder_z
      - .offset:         72
        .size:           8
        .value_kind:     hidden_global_offset_x
      - .offset:         80
        .size:           8
        .value_kind:     hidden_global_offset_y
      - .offset:         88
        .size:           8
        .value_kind:     hidden_global_offset_z
      - .offset:         96
        .size:           2
        .value_kind:     hidden_grid_dims
    .group_segment_fixed_size: 0
    .kernarg_segment_align: 8
    .kernarg_segment_size: 288
    .language:       OpenCL C
    .language_version:
      - 2
      - 0
    .max_flat_workgroup_size: 512
    .name:           _ZN7rocprim17ROCPRIM_304000_NS6detail16transform_kernelINS1_24wrapped_transform_configINS0_14default_configEN3c107complexIfEEEES7_PS7_S9_NS0_8identityIS7_EEEEvT1_mT2_T3_
    .private_segment_fixed_size: 0
    .sgpr_count:     14
    .sgpr_spill_count: 0
    .symbol:         _ZN7rocprim17ROCPRIM_304000_NS6detail16transform_kernelINS1_24wrapped_transform_configINS0_14default_configEN3c107complexIfEEEES7_PS7_S9_NS0_8identityIS7_EEEEvT1_mT2_T3_.kd
    .uniform_work_group_size: 1
    .uses_dynamic_stack: false
    .vgpr_count:     3
    .vgpr_spill_count: 0
    .wavefront_size: 64
  - .args:
      - .address_space:  global
        .offset:         0
        .size:           8
        .value_kind:     global_buffer
      - .offset:         8
        .size:           8
        .value_kind:     by_value
      - .offset:         16
        .size:           8
        .value_kind:     by_value
      - .address_space:  global
        .offset:         24
        .size:           8
        .value_kind:     global_buffer
      - .offset:         32
        .size:           1
        .value_kind:     by_value
    .group_segment_fixed_size: 7168
    .kernarg_segment_align: 8
    .kernarg_segment_size: 36
    .language:       OpenCL C
    .language_version:
      - 2
      - 0
    .max_flat_workgroup_size: 64
    .name:           _ZN7rocprim17ROCPRIM_304000_NS6detail18single_scan_kernelILb0ENS1_19wrapped_scan_configINS0_14default_configEN3c107complexIfEEEEPKS7_PS7_St10multipliesIS7_ES7_S7_EEvT1_mT4_T2_T3_
    .private_segment_fixed_size: 0
    .sgpr_count:     40
    .sgpr_spill_count: 0
    .symbol:         _ZN7rocprim17ROCPRIM_304000_NS6detail18single_scan_kernelILb0ENS1_19wrapped_scan_configINS0_14default_configEN3c107complexIfEEEEPKS7_PS7_St10multipliesIS7_ES7_S7_EEvT1_mT4_T2_T3_.kd
    .uniform_work_group_size: 1
    .uses_dynamic_stack: false
    .vgpr_count:     38
    .vgpr_spill_count: 0
    .wavefront_size: 64
  - .args:
      - .address_space:  global
        .offset:         0
        .size:           8
        .value_kind:     global_buffer
      - .address_space:  global
        .offset:         8
        .size:           8
        .value_kind:     global_buffer
      - .offset:         16
        .size:           4
        .value_kind:     by_value
      - .offset:         20
        .size:           4
        .value_kind:     by_value
      - .offset:         24
        .size:           4
        .value_kind:     by_value
      - .offset:         32
        .size:           8
        .value_kind:     by_value
      - .offset:         40
        .size:           1
        .value_kind:     by_value
      - .offset:         48
        .size:           4
        .value_kind:     hidden_block_count_x
      - .offset:         52
        .size:           4
        .value_kind:     hidden_block_count_y
      - .offset:         56
        .size:           4
        .value_kind:     hidden_block_count_z
      - .offset:         60
        .size:           2
        .value_kind:     hidden_group_size_x
      - .offset:         62
        .size:           2
        .value_kind:     hidden_group_size_y
      - .offset:         64
        .size:           2
        .value_kind:     hidden_group_size_z
      - .offset:         66
        .size:           2
        .value_kind:     hidden_remainder_x
      - .offset:         68
        .size:           2
        .value_kind:     hidden_remainder_y
      - .offset:         70
        .size:           2
        .value_kind:     hidden_remainder_z
      - .offset:         88
        .size:           8
        .value_kind:     hidden_global_offset_x
      - .offset:         96
        .size:           8
        .value_kind:     hidden_global_offset_y
      - .offset:         104
        .size:           8
        .value_kind:     hidden_global_offset_z
      - .offset:         112
        .size:           2
        .value_kind:     hidden_grid_dims
      - .offset:         168
        .size:           4
        .value_kind:     hidden_dynamic_lds_size
    .group_segment_fixed_size: 0
    .kernarg_segment_align: 8
    .kernarg_segment_size: 304
    .language:       OpenCL C
    .language_version:
      - 2
      - 0
    .max_flat_workgroup_size: 1024
    .name:           _ZN2at6native32tensor_kernel_scan_innermost_dimIN3c107complexIfEESt10multipliesIS4_EEEvPT_PKS7_jjjS7_T0_
    .private_segment_fixed_size: 0
    .sgpr_count:     39
    .sgpr_spill_count: 0
    .symbol:         _ZN2at6native32tensor_kernel_scan_innermost_dimIN3c107complexIfEESt10multipliesIS4_EEEvPT_PKS7_jjjS7_T0_.kd
    .uniform_work_group_size: 1
    .uses_dynamic_stack: false
    .vgpr_count:     23
    .vgpr_spill_count: 0
    .wavefront_size: 64
  - .args:
      - .address_space:  global
        .offset:         0
        .size:           8
        .value_kind:     global_buffer
      - .address_space:  global
        .offset:         8
        .size:           8
        .value_kind:     global_buffer
      - .offset:         16
        .size:           4
        .value_kind:     by_value
      - .offset:         20
        .size:           4
        .value_kind:     by_value
      - .offset:         24
        .size:           4
        .value_kind:     by_value
      - .offset:         32
        .size:           8
        .value_kind:     by_value
      - .offset:         40
        .size:           1
        .value_kind:     by_value
      - .offset:         48
        .size:           4
        .value_kind:     hidden_block_count_x
      - .offset:         52
        .size:           4
        .value_kind:     hidden_block_count_y
      - .offset:         56
        .size:           4
        .value_kind:     hidden_block_count_z
      - .offset:         60
        .size:           2
        .value_kind:     hidden_group_size_x
      - .offset:         62
        .size:           2
        .value_kind:     hidden_group_size_y
      - .offset:         64
        .size:           2
        .value_kind:     hidden_group_size_z
      - .offset:         66
        .size:           2
        .value_kind:     hidden_remainder_x
      - .offset:         68
        .size:           2
        .value_kind:     hidden_remainder_y
      - .offset:         70
        .size:           2
        .value_kind:     hidden_remainder_z
      - .offset:         88
        .size:           8
        .value_kind:     hidden_global_offset_x
      - .offset:         96
        .size:           8
        .value_kind:     hidden_global_offset_y
      - .offset:         104
        .size:           8
        .value_kind:     hidden_global_offset_z
      - .offset:         112
        .size:           2
        .value_kind:     hidden_grid_dims
    .group_segment_fixed_size: 0
    .kernarg_segment_align: 8
    .kernarg_segment_size: 304
    .language:       OpenCL C
    .language_version:
      - 2
      - 0
    .max_flat_workgroup_size: 1024
    .name:           _ZN2at6native28tensor_kernel_scan_outer_dimIN3c107complexIfEEjSt10multipliesIS4_EEEvPT_PKS7_jjjS7_T1_
    .private_segment_fixed_size: 0
    .sgpr_count:     38
    .sgpr_spill_count: 0
    .symbol:         _ZN2at6native28tensor_kernel_scan_outer_dimIN3c107complexIfEEjSt10multipliesIS4_EEEvPT_PKS7_jjjS7_T1_.kd
    .uniform_work_group_size: 1
    .uses_dynamic_stack: false
    .vgpr_count:     13
    .vgpr_spill_count: 0
    .wavefront_size: 64
  - .args:
      - .address_space:  global
        .offset:         0
        .size:           8
        .value_kind:     global_buffer
      - .address_space:  global
        .offset:         8
        .size:           8
        .value_kind:     global_buffer
      - .offset:         16
        .size:           4
        .value_kind:     by_value
      - .offset:         20
        .size:           4
        .value_kind:     by_value
      - .offset:         24
        .size:           4
        .value_kind:     by_value
      - .offset:         32
        .size:           8
        .value_kind:     by_value
      - .offset:         40
        .size:           1
        .value_kind:     by_value
      - .offset:         48
        .size:           4
        .value_kind:     hidden_block_count_x
      - .offset:         52
        .size:           4
        .value_kind:     hidden_block_count_y
      - .offset:         56
        .size:           4
        .value_kind:     hidden_block_count_z
      - .offset:         60
        .size:           2
        .value_kind:     hidden_group_size_x
      - .offset:         62
        .size:           2
        .value_kind:     hidden_group_size_y
      - .offset:         64
        .size:           2
        .value_kind:     hidden_group_size_z
      - .offset:         66
        .size:           2
        .value_kind:     hidden_remainder_x
      - .offset:         68
        .size:           2
        .value_kind:     hidden_remainder_y
      - .offset:         70
        .size:           2
        .value_kind:     hidden_remainder_z
      - .offset:         88
        .size:           8
        .value_kind:     hidden_global_offset_x
      - .offset:         96
        .size:           8
        .value_kind:     hidden_global_offset_y
      - .offset:         104
        .size:           8
        .value_kind:     hidden_global_offset_z
      - .offset:         112
        .size:           2
        .value_kind:     hidden_grid_dims
    .group_segment_fixed_size: 0
    .kernarg_segment_align: 8
    .kernarg_segment_size: 304
    .language:       OpenCL C
    .language_version:
      - 2
      - 0
    .max_flat_workgroup_size: 1024
    .name:           _ZN2at6native28tensor_kernel_scan_outer_dimIN3c107complexIfEEmSt10multipliesIS4_EEEvPT_PKS7_jjjS7_T1_
    .private_segment_fixed_size: 0
    .sgpr_count:     36
    .sgpr_spill_count: 0
    .symbol:         _ZN2at6native28tensor_kernel_scan_outer_dimIN3c107complexIfEEmSt10multipliesIS4_EEEvPT_PKS7_jjjS7_T1_.kd
    .uniform_work_group_size: 1
    .uses_dynamic_stack: false
    .vgpr_count:     13
    .vgpr_spill_count: 0
    .wavefront_size: 64
  - .args:
      - .address_space:  global
        .offset:         0
        .size:           8
        .value_kind:     global_buffer
      - .offset:         8
        .size:           4
        .value_kind:     by_value
      - .offset:         12
        .size:           4
        .value_kind:     by_value
      - .address_space:  global
        .offset:         16
        .size:           8
        .value_kind:     global_buffer
      - .offset:         24
        .size:           4
        .value_kind:     hidden_block_count_x
      - .offset:         28
        .size:           4
        .value_kind:     hidden_block_count_y
      - .offset:         32
        .size:           4
        .value_kind:     hidden_block_count_z
      - .offset:         36
        .size:           2
        .value_kind:     hidden_group_size_x
      - .offset:         38
        .size:           2
        .value_kind:     hidden_group_size_y
      - .offset:         40
        .size:           2
        .value_kind:     hidden_group_size_z
      - .offset:         42
        .size:           2
        .value_kind:     hidden_remainder_x
      - .offset:         44
        .size:           2
        .value_kind:     hidden_remainder_y
      - .offset:         46
        .size:           2
        .value_kind:     hidden_remainder_z
      - .offset:         64
        .size:           8
        .value_kind:     hidden_global_offset_x
      - .offset:         72
        .size:           8
        .value_kind:     hidden_global_offset_y
      - .offset:         80
        .size:           8
        .value_kind:     hidden_global_offset_z
      - .offset:         88
        .size:           2
        .value_kind:     hidden_grid_dims
    .group_segment_fixed_size: 0
    .kernarg_segment_align: 8
    .kernarg_segment_size: 280
    .language:       OpenCL C
    .language_version:
      - 2
      - 0
    .max_flat_workgroup_size: 256
    .name:           _ZN7rocprim17ROCPRIM_304000_NS6detail31init_lookback_scan_state_kernelINS1_19lookback_scan_stateIN3c104HalfELb1ELb1EEEEEvT_jjPNS7_10value_typeE
    .private_segment_fixed_size: 0
    .sgpr_count:     16
    .sgpr_spill_count: 0
    .symbol:         _ZN7rocprim17ROCPRIM_304000_NS6detail31init_lookback_scan_state_kernelINS1_19lookback_scan_stateIN3c104HalfELb1ELb1EEEEEvT_jjPNS7_10value_typeE.kd
    .uniform_work_group_size: 1
    .uses_dynamic_stack: false
    .vgpr_count:     5
    .vgpr_spill_count: 0
    .wavefront_size: 64
  - .args:
      - .address_space:  global
        .offset:         0
        .size:           8
        .value_kind:     global_buffer
      - .offset:         8
        .size:           4
        .value_kind:     by_value
      - .offset:         12
        .size:           4
        .value_kind:     by_value
      - .address_space:  global
        .offset:         16
        .size:           8
        .value_kind:     global_buffer
      - .offset:         24
        .size:           4
        .value_kind:     hidden_block_count_x
      - .offset:         28
        .size:           4
        .value_kind:     hidden_block_count_y
      - .offset:         32
        .size:           4
        .value_kind:     hidden_block_count_z
      - .offset:         36
        .size:           2
        .value_kind:     hidden_group_size_x
      - .offset:         38
        .size:           2
        .value_kind:     hidden_group_size_y
      - .offset:         40
        .size:           2
        .value_kind:     hidden_group_size_z
      - .offset:         42
        .size:           2
        .value_kind:     hidden_remainder_x
      - .offset:         44
        .size:           2
        .value_kind:     hidden_remainder_y
      - .offset:         46
        .size:           2
        .value_kind:     hidden_remainder_z
      - .offset:         64
        .size:           8
        .value_kind:     hidden_global_offset_x
      - .offset:         72
        .size:           8
        .value_kind:     hidden_global_offset_y
      - .offset:         80
        .size:           8
        .value_kind:     hidden_global_offset_z
      - .offset:         88
        .size:           2
        .value_kind:     hidden_grid_dims
    .group_segment_fixed_size: 0
    .kernarg_segment_align: 8
    .kernarg_segment_size: 280
    .language:       OpenCL C
    .language_version:
      - 2
      - 0
    .max_flat_workgroup_size: 256
    .name:           _ZN7rocprim17ROCPRIM_304000_NS6detail31init_lookback_scan_state_kernelINS1_19lookback_scan_stateIN3c104HalfELb0ELb1EEEEEvT_jjPNS7_10value_typeE
    .private_segment_fixed_size: 0
    .sgpr_count:     14
    .sgpr_spill_count: 0
    .symbol:         _ZN7rocprim17ROCPRIM_304000_NS6detail31init_lookback_scan_state_kernelINS1_19lookback_scan_stateIN3c104HalfELb0ELb1EEEEEvT_jjPNS7_10value_typeE.kd
    .uniform_work_group_size: 1
    .uses_dynamic_stack: false
    .vgpr_count:     5
    .vgpr_spill_count: 0
    .wavefront_size: 64
  - .args:
      - .address_space:  global
        .offset:         0
        .size:           8
        .value_kind:     global_buffer
      - .address_space:  global
        .offset:         8
        .size:           8
        .value_kind:     global_buffer
      - .offset:         16
        .size:           8
        .value_kind:     by_value
      - .offset:         24
        .size:           2
        .value_kind:     by_value
      - .offset:         26
        .size:           1
        .value_kind:     by_value
      - .address_space:  global
        .offset:         32
        .size:           8
        .value_kind:     global_buffer
      - .offset:         40
        .size:           4
        .value_kind:     by_value
      - .address_space:  global
        .offset:         48
        .size:           8
        .value_kind:     global_buffer
      - .address_space:  global
        .offset:         56
        .size:           8
        .value_kind:     global_buffer
      - .offset:         64
        .size:           1
        .value_kind:     by_value
      - .offset:         65
        .size:           1
        .value_kind:     by_value
    .group_segment_fixed_size: 0
    .kernarg_segment_align: 8
    .kernarg_segment_size: 68
    .language:       OpenCL C
    .language_version:
      - 2
      - 0
    .max_flat_workgroup_size: 256
    .name:           _ZN7rocprim17ROCPRIM_304000_NS6detail20lookback_scan_kernelILNS1_25lookback_scan_determinismE0ELb0ENS1_19wrapped_scan_configINS0_14default_configEN3c104HalfEEEPKS7_PS7_St10multipliesIS7_ES7_S7_NS1_19lookback_scan_stateIS7_Lb1ELb1EEEEEvT2_T3_mT5_T4_T7_jPT6_SM_bb
    .private_segment_fixed_size: 0
    .sgpr_count:     4
    .sgpr_spill_count: 0
    .symbol:         _ZN7rocprim17ROCPRIM_304000_NS6detail20lookback_scan_kernelILNS1_25lookback_scan_determinismE0ELb0ENS1_19wrapped_scan_configINS0_14default_configEN3c104HalfEEEPKS7_PS7_St10multipliesIS7_ES7_S7_NS1_19lookback_scan_stateIS7_Lb1ELb1EEEEEvT2_T3_mT5_T4_T7_jPT6_SM_bb.kd
    .uniform_work_group_size: 1
    .uses_dynamic_stack: false
    .vgpr_count:     0
    .vgpr_spill_count: 0
    .wavefront_size: 64
  - .args:
      - .address_space:  global
        .offset:         0
        .size:           8
        .value_kind:     global_buffer
      - .address_space:  global
        .offset:         8
        .size:           8
        .value_kind:     global_buffer
      - .offset:         16
        .size:           8
        .value_kind:     by_value
      - .offset:         24
        .size:           2
        .value_kind:     by_value
      - .offset:         26
        .size:           1
        .value_kind:     by_value
      - .address_space:  global
        .offset:         32
        .size:           8
        .value_kind:     global_buffer
      - .offset:         40
        .size:           4
        .value_kind:     by_value
      - .address_space:  global
        .offset:         48
        .size:           8
        .value_kind:     global_buffer
      - .address_space:  global
        .offset:         56
        .size:           8
        .value_kind:     global_buffer
      - .offset:         64
        .size:           1
        .value_kind:     by_value
      - .offset:         65
        .size:           1
        .value_kind:     by_value
    .group_segment_fixed_size: 12288
    .kernarg_segment_align: 8
    .kernarg_segment_size: 68
    .language:       OpenCL C
    .language_version:
      - 2
      - 0
    .max_flat_workgroup_size: 256
    .name:           _ZN7rocprim17ROCPRIM_304000_NS6detail20lookback_scan_kernelILNS1_25lookback_scan_determinismE0ELb0ENS1_19wrapped_scan_configINS0_14default_configEN3c104HalfEEEPKS7_PS7_St10multipliesIS7_ES7_S7_NS1_19lookback_scan_stateIS7_Lb0ELb1EEEEEvT2_T3_mT5_T4_T7_jPT6_SM_bb
    .private_segment_fixed_size: 0
    .sgpr_count:     36
    .sgpr_spill_count: 0
    .symbol:         _ZN7rocprim17ROCPRIM_304000_NS6detail20lookback_scan_kernelILNS1_25lookback_scan_determinismE0ELb0ENS1_19wrapped_scan_configINS0_14default_configEN3c104HalfEEEPKS7_PS7_St10multipliesIS7_ES7_S7_NS1_19lookback_scan_stateIS7_Lb0ELb1EEEEEvT2_T3_mT5_T4_T7_jPT6_SM_bb.kd
    .uniform_work_group_size: 1
    .uses_dynamic_stack: false
    .vgpr_count:     47
    .vgpr_spill_count: 0
    .wavefront_size: 64
  - .args:
      - .address_space:  global
        .offset:         0
        .size:           8
        .value_kind:     global_buffer
      - .offset:         8
        .size:           8
        .value_kind:     by_value
      - .address_space:  global
        .offset:         16
        .size:           8
        .value_kind:     global_buffer
      - .offset:         24
        .size:           1
        .value_kind:     by_value
      - .offset:         32
        .size:           4
        .value_kind:     hidden_block_count_x
      - .offset:         36
        .size:           4
        .value_kind:     hidden_block_count_y
      - .offset:         40
        .size:           4
        .value_kind:     hidden_block_count_z
      - .offset:         44
        .size:           2
        .value_kind:     hidden_group_size_x
      - .offset:         46
        .size:           2
        .value_kind:     hidden_group_size_y
      - .offset:         48
        .size:           2
        .value_kind:     hidden_group_size_z
      - .offset:         50
        .size:           2
        .value_kind:     hidden_remainder_x
      - .offset:         52
        .size:           2
        .value_kind:     hidden_remainder_y
      - .offset:         54
        .size:           2
        .value_kind:     hidden_remainder_z
      - .offset:         72
        .size:           8
        .value_kind:     hidden_global_offset_x
      - .offset:         80
        .size:           8
        .value_kind:     hidden_global_offset_y
      - .offset:         88
        .size:           8
        .value_kind:     hidden_global_offset_z
      - .offset:         96
        .size:           2
        .value_kind:     hidden_grid_dims
    .group_segment_fixed_size: 0
    .kernarg_segment_align: 8
    .kernarg_segment_size: 288
    .language:       OpenCL C
    .language_version:
      - 2
      - 0
    .max_flat_workgroup_size: 512
    .name:           _ZN7rocprim17ROCPRIM_304000_NS6detail16transform_kernelINS1_24wrapped_transform_configINS0_14default_configEN3c104HalfEEES6_PS6_S8_NS0_8identityIS6_EEEEvT1_mT2_T3_
    .private_segment_fixed_size: 0
    .sgpr_count:     16
    .sgpr_spill_count: 0
    .symbol:         _ZN7rocprim17ROCPRIM_304000_NS6detail16transform_kernelINS1_24wrapped_transform_configINS0_14default_configEN3c104HalfEEES6_PS6_S8_NS0_8identityIS6_EEEEvT1_mT2_T3_.kd
    .uniform_work_group_size: 1
    .uses_dynamic_stack: false
    .vgpr_count:     8
    .vgpr_spill_count: 0
    .wavefront_size: 64
  - .args:
      - .address_space:  global
        .offset:         0
        .size:           8
        .value_kind:     global_buffer
      - .offset:         8
        .size:           8
        .value_kind:     by_value
      - .offset:         16
        .size:           2
        .value_kind:     by_value
      - .address_space:  global
        .offset:         24
        .size:           8
        .value_kind:     global_buffer
      - .offset:         32
        .size:           1
        .value_kind:     by_value
    .group_segment_fixed_size: 12288
    .kernarg_segment_align: 8
    .kernarg_segment_size: 36
    .language:       OpenCL C
    .language_version:
      - 2
      - 0
    .max_flat_workgroup_size: 256
    .name:           _ZN7rocprim17ROCPRIM_304000_NS6detail18single_scan_kernelILb0ENS1_19wrapped_scan_configINS0_14default_configEN3c104HalfEEEPKS6_PS6_St10multipliesIS6_ES6_S6_EEvT1_mT4_T2_T3_
    .private_segment_fixed_size: 0
    .sgpr_count:     58
    .sgpr_spill_count: 0
    .symbol:         _ZN7rocprim17ROCPRIM_304000_NS6detail18single_scan_kernelILb0ENS1_19wrapped_scan_configINS0_14default_configEN3c104HalfEEEPKS6_PS6_St10multipliesIS6_ES6_S6_EEvT1_mT4_T2_T3_.kd
    .uniform_work_group_size: 1
    .uses_dynamic_stack: false
    .vgpr_count:     44
    .vgpr_spill_count: 0
    .wavefront_size: 64
  - .args:
      - .address_space:  global
        .offset:         0
        .size:           8
        .value_kind:     global_buffer
      - .address_space:  global
        .offset:         8
        .size:           8
        .value_kind:     global_buffer
      - .offset:         16
        .size:           4
        .value_kind:     by_value
      - .offset:         20
        .size:           4
        .value_kind:     by_value
      - .offset:         24
        .size:           4
        .value_kind:     by_value
      - .offset:         28
        .size:           2
        .value_kind:     by_value
      - .offset:         30
        .size:           1
        .value_kind:     by_value
      - .offset:         32
        .size:           4
        .value_kind:     hidden_block_count_x
      - .offset:         36
        .size:           4
        .value_kind:     hidden_block_count_y
      - .offset:         40
        .size:           4
        .value_kind:     hidden_block_count_z
      - .offset:         44
        .size:           2
        .value_kind:     hidden_group_size_x
      - .offset:         46
        .size:           2
        .value_kind:     hidden_group_size_y
      - .offset:         48
        .size:           2
        .value_kind:     hidden_group_size_z
      - .offset:         50
        .size:           2
        .value_kind:     hidden_remainder_x
      - .offset:         52
        .size:           2
        .value_kind:     hidden_remainder_y
      - .offset:         54
        .size:           2
        .value_kind:     hidden_remainder_z
      - .offset:         72
        .size:           8
        .value_kind:     hidden_global_offset_x
      - .offset:         80
        .size:           8
        .value_kind:     hidden_global_offset_y
      - .offset:         88
        .size:           8
        .value_kind:     hidden_global_offset_z
      - .offset:         96
        .size:           2
        .value_kind:     hidden_grid_dims
      - .offset:         152
        .size:           4
        .value_kind:     hidden_dynamic_lds_size
    .group_segment_fixed_size: 0
    .kernarg_segment_align: 8
    .kernarg_segment_size: 288
    .language:       OpenCL C
    .language_version:
      - 2
      - 0
    .max_flat_workgroup_size: 1024
    .name:           _ZN2at6native32tensor_kernel_scan_innermost_dimIN3c104HalfESt10multipliesIS3_EEEvPT_PKS6_jjjS6_T0_
    .private_segment_fixed_size: 0
    .sgpr_count:     38
    .sgpr_spill_count: 0
    .symbol:         _ZN2at6native32tensor_kernel_scan_innermost_dimIN3c104HalfESt10multipliesIS3_EEEvPT_PKS6_jjjS6_T0_.kd
    .uniform_work_group_size: 1
    .uses_dynamic_stack: false
    .vgpr_count:     20
    .vgpr_spill_count: 0
    .wavefront_size: 64
  - .args:
      - .address_space:  global
        .offset:         0
        .size:           8
        .value_kind:     global_buffer
      - .address_space:  global
        .offset:         8
        .size:           8
        .value_kind:     global_buffer
      - .offset:         16
        .size:           4
        .value_kind:     by_value
      - .offset:         20
        .size:           4
        .value_kind:     by_value
      - .offset:         24
        .size:           4
        .value_kind:     by_value
      - .offset:         28
        .size:           2
        .value_kind:     by_value
      - .offset:         30
        .size:           1
        .value_kind:     by_value
      - .offset:         32
        .size:           4
        .value_kind:     hidden_block_count_x
      - .offset:         36
        .size:           4
        .value_kind:     hidden_block_count_y
      - .offset:         40
        .size:           4
        .value_kind:     hidden_block_count_z
      - .offset:         44
        .size:           2
        .value_kind:     hidden_group_size_x
      - .offset:         46
        .size:           2
        .value_kind:     hidden_group_size_y
      - .offset:         48
        .size:           2
        .value_kind:     hidden_group_size_z
      - .offset:         50
        .size:           2
        .value_kind:     hidden_remainder_x
      - .offset:         52
        .size:           2
        .value_kind:     hidden_remainder_y
      - .offset:         54
        .size:           2
        .value_kind:     hidden_remainder_z
      - .offset:         72
        .size:           8
        .value_kind:     hidden_global_offset_x
      - .offset:         80
        .size:           8
        .value_kind:     hidden_global_offset_y
      - .offset:         88
        .size:           8
        .value_kind:     hidden_global_offset_z
      - .offset:         96
        .size:           2
        .value_kind:     hidden_grid_dims
    .group_segment_fixed_size: 0
    .kernarg_segment_align: 8
    .kernarg_segment_size: 288
    .language:       OpenCL C
    .language_version:
      - 2
      - 0
    .max_flat_workgroup_size: 1024
    .name:           _ZN2at6native28tensor_kernel_scan_outer_dimIN3c104HalfEjSt10multipliesIS3_EEEvPT_PKS6_jjjS6_T1_
    .private_segment_fixed_size: 0
    .sgpr_count:     36
    .sgpr_spill_count: 0
    .symbol:         _ZN2at6native28tensor_kernel_scan_outer_dimIN3c104HalfEjSt10multipliesIS3_EEEvPT_PKS6_jjjS6_T1_.kd
    .uniform_work_group_size: 1
    .uses_dynamic_stack: false
    .vgpr_count:     10
    .vgpr_spill_count: 0
    .wavefront_size: 64
  - .args:
      - .address_space:  global
        .offset:         0
        .size:           8
        .value_kind:     global_buffer
      - .address_space:  global
        .offset:         8
        .size:           8
        .value_kind:     global_buffer
      - .offset:         16
        .size:           4
        .value_kind:     by_value
      - .offset:         20
        .size:           4
        .value_kind:     by_value
      - .offset:         24
        .size:           4
        .value_kind:     by_value
      - .offset:         28
        .size:           2
        .value_kind:     by_value
      - .offset:         30
        .size:           1
        .value_kind:     by_value
      - .offset:         32
        .size:           4
        .value_kind:     hidden_block_count_x
      - .offset:         36
        .size:           4
        .value_kind:     hidden_block_count_y
      - .offset:         40
        .size:           4
        .value_kind:     hidden_block_count_z
      - .offset:         44
        .size:           2
        .value_kind:     hidden_group_size_x
      - .offset:         46
        .size:           2
        .value_kind:     hidden_group_size_y
      - .offset:         48
        .size:           2
        .value_kind:     hidden_group_size_z
      - .offset:         50
        .size:           2
        .value_kind:     hidden_remainder_x
      - .offset:         52
        .size:           2
        .value_kind:     hidden_remainder_y
      - .offset:         54
        .size:           2
        .value_kind:     hidden_remainder_z
      - .offset:         72
        .size:           8
        .value_kind:     hidden_global_offset_x
      - .offset:         80
        .size:           8
        .value_kind:     hidden_global_offset_y
      - .offset:         88
        .size:           8
        .value_kind:     hidden_global_offset_z
      - .offset:         96
        .size:           2
        .value_kind:     hidden_grid_dims
    .group_segment_fixed_size: 0
    .kernarg_segment_align: 8
    .kernarg_segment_size: 288
    .language:       OpenCL C
    .language_version:
      - 2
      - 0
    .max_flat_workgroup_size: 1024
    .name:           _ZN2at6native28tensor_kernel_scan_outer_dimIN3c104HalfEmSt10multipliesIS3_EEEvPT_PKS6_jjjS6_T1_
    .private_segment_fixed_size: 0
    .sgpr_count:     35
    .sgpr_spill_count: 0
    .symbol:         _ZN2at6native28tensor_kernel_scan_outer_dimIN3c104HalfEmSt10multipliesIS3_EEEvPT_PKS6_jjjS6_T1_.kd
    .uniform_work_group_size: 1
    .uses_dynamic_stack: false
    .vgpr_count:     10
    .vgpr_spill_count: 0
    .wavefront_size: 64
  - .args:
      - .address_space:  global
        .offset:         0
        .size:           8
        .value_kind:     global_buffer
      - .offset:         8
        .size:           4
        .value_kind:     by_value
      - .offset:         12
        .size:           4
        .value_kind:     by_value
      - .address_space:  global
        .offset:         16
        .size:           8
        .value_kind:     global_buffer
      - .offset:         24
        .size:           4
        .value_kind:     hidden_block_count_x
      - .offset:         28
        .size:           4
        .value_kind:     hidden_block_count_y
      - .offset:         32
        .size:           4
        .value_kind:     hidden_block_count_z
      - .offset:         36
        .size:           2
        .value_kind:     hidden_group_size_x
      - .offset:         38
        .size:           2
        .value_kind:     hidden_group_size_y
      - .offset:         40
        .size:           2
        .value_kind:     hidden_group_size_z
      - .offset:         42
        .size:           2
        .value_kind:     hidden_remainder_x
      - .offset:         44
        .size:           2
        .value_kind:     hidden_remainder_y
      - .offset:         46
        .size:           2
        .value_kind:     hidden_remainder_z
      - .offset:         64
        .size:           8
        .value_kind:     hidden_global_offset_x
      - .offset:         72
        .size:           8
        .value_kind:     hidden_global_offset_y
      - .offset:         80
        .size:           8
        .value_kind:     hidden_global_offset_z
      - .offset:         88
        .size:           2
        .value_kind:     hidden_grid_dims
    .group_segment_fixed_size: 0
    .kernarg_segment_align: 8
    .kernarg_segment_size: 280
    .language:       OpenCL C
    .language_version:
      - 2
      - 0
    .max_flat_workgroup_size: 256
    .name:           _ZN7rocprim17ROCPRIM_304000_NS6detail31init_lookback_scan_state_kernelINS1_19lookback_scan_stateIN3c108BFloat16ELb1ELb1EEEEEvT_jjPNS7_10value_typeE
    .private_segment_fixed_size: 0
    .sgpr_count:     16
    .sgpr_spill_count: 0
    .symbol:         _ZN7rocprim17ROCPRIM_304000_NS6detail31init_lookback_scan_state_kernelINS1_19lookback_scan_stateIN3c108BFloat16ELb1ELb1EEEEEvT_jjPNS7_10value_typeE.kd
    .uniform_work_group_size: 1
    .uses_dynamic_stack: false
    .vgpr_count:     5
    .vgpr_spill_count: 0
    .wavefront_size: 64
  - .args:
      - .address_space:  global
        .offset:         0
        .size:           8
        .value_kind:     global_buffer
      - .offset:         8
        .size:           4
        .value_kind:     by_value
      - .offset:         12
        .size:           4
        .value_kind:     by_value
      - .address_space:  global
        .offset:         16
        .size:           8
        .value_kind:     global_buffer
      - .offset:         24
        .size:           4
        .value_kind:     hidden_block_count_x
      - .offset:         28
        .size:           4
        .value_kind:     hidden_block_count_y
      - .offset:         32
        .size:           4
        .value_kind:     hidden_block_count_z
      - .offset:         36
        .size:           2
        .value_kind:     hidden_group_size_x
      - .offset:         38
        .size:           2
        .value_kind:     hidden_group_size_y
      - .offset:         40
        .size:           2
        .value_kind:     hidden_group_size_z
      - .offset:         42
        .size:           2
        .value_kind:     hidden_remainder_x
      - .offset:         44
        .size:           2
        .value_kind:     hidden_remainder_y
      - .offset:         46
        .size:           2
        .value_kind:     hidden_remainder_z
      - .offset:         64
        .size:           8
        .value_kind:     hidden_global_offset_x
      - .offset:         72
        .size:           8
        .value_kind:     hidden_global_offset_y
      - .offset:         80
        .size:           8
        .value_kind:     hidden_global_offset_z
      - .offset:         88
        .size:           2
        .value_kind:     hidden_grid_dims
    .group_segment_fixed_size: 0
    .kernarg_segment_align: 8
    .kernarg_segment_size: 280
    .language:       OpenCL C
    .language_version:
      - 2
      - 0
    .max_flat_workgroup_size: 256
    .name:           _ZN7rocprim17ROCPRIM_304000_NS6detail31init_lookback_scan_state_kernelINS1_19lookback_scan_stateIN3c108BFloat16ELb0ELb1EEEEEvT_jjPNS7_10value_typeE
    .private_segment_fixed_size: 0
    .sgpr_count:     14
    .sgpr_spill_count: 0
    .symbol:         _ZN7rocprim17ROCPRIM_304000_NS6detail31init_lookback_scan_state_kernelINS1_19lookback_scan_stateIN3c108BFloat16ELb0ELb1EEEEEvT_jjPNS7_10value_typeE.kd
    .uniform_work_group_size: 1
    .uses_dynamic_stack: false
    .vgpr_count:     5
    .vgpr_spill_count: 0
    .wavefront_size: 64
  - .args:
      - .address_space:  global
        .offset:         0
        .size:           8
        .value_kind:     global_buffer
      - .address_space:  global
        .offset:         8
        .size:           8
        .value_kind:     global_buffer
      - .offset:         16
        .size:           8
        .value_kind:     by_value
      - .offset:         24
        .size:           2
        .value_kind:     by_value
      - .offset:         26
        .size:           1
        .value_kind:     by_value
      - .address_space:  global
        .offset:         32
        .size:           8
        .value_kind:     global_buffer
      - .offset:         40
        .size:           4
        .value_kind:     by_value
      - .address_space:  global
        .offset:         48
        .size:           8
        .value_kind:     global_buffer
      - .address_space:  global
        .offset:         56
        .size:           8
        .value_kind:     global_buffer
      - .offset:         64
        .size:           1
        .value_kind:     by_value
      - .offset:         65
        .size:           1
        .value_kind:     by_value
    .group_segment_fixed_size: 0
    .kernarg_segment_align: 8
    .kernarg_segment_size: 68
    .language:       OpenCL C
    .language_version:
      - 2
      - 0
    .max_flat_workgroup_size: 256
    .name:           _ZN7rocprim17ROCPRIM_304000_NS6detail20lookback_scan_kernelILNS1_25lookback_scan_determinismE0ELb0ENS1_19wrapped_scan_configINS0_14default_configEN3c108BFloat16EEEPKS7_PS7_St10multipliesIS7_ES7_S7_NS1_19lookback_scan_stateIS7_Lb1ELb1EEEEEvT2_T3_mT5_T4_T7_jPT6_SM_bb
    .private_segment_fixed_size: 0
    .sgpr_count:     4
    .sgpr_spill_count: 0
    .symbol:         _ZN7rocprim17ROCPRIM_304000_NS6detail20lookback_scan_kernelILNS1_25lookback_scan_determinismE0ELb0ENS1_19wrapped_scan_configINS0_14default_configEN3c108BFloat16EEEPKS7_PS7_St10multipliesIS7_ES7_S7_NS1_19lookback_scan_stateIS7_Lb1ELb1EEEEEvT2_T3_mT5_T4_T7_jPT6_SM_bb.kd
    .uniform_work_group_size: 1
    .uses_dynamic_stack: false
    .vgpr_count:     0
    .vgpr_spill_count: 0
    .wavefront_size: 64
  - .args:
      - .address_space:  global
        .offset:         0
        .size:           8
        .value_kind:     global_buffer
      - .address_space:  global
        .offset:         8
        .size:           8
        .value_kind:     global_buffer
      - .offset:         16
        .size:           8
        .value_kind:     by_value
      - .offset:         24
        .size:           2
        .value_kind:     by_value
      - .offset:         26
        .size:           1
        .value_kind:     by_value
      - .address_space:  global
        .offset:         32
        .size:           8
        .value_kind:     global_buffer
      - .offset:         40
        .size:           4
        .value_kind:     by_value
      - .address_space:  global
        .offset:         48
        .size:           8
        .value_kind:     global_buffer
      - .address_space:  global
        .offset:         56
        .size:           8
        .value_kind:     global_buffer
      - .offset:         64
        .size:           1
        .value_kind:     by_value
      - .offset:         65
        .size:           1
        .value_kind:     by_value
    .group_segment_fixed_size: 12288
    .kernarg_segment_align: 8
    .kernarg_segment_size: 68
    .language:       OpenCL C
    .language_version:
      - 2
      - 0
    .max_flat_workgroup_size: 256
    .name:           _ZN7rocprim17ROCPRIM_304000_NS6detail20lookback_scan_kernelILNS1_25lookback_scan_determinismE0ELb0ENS1_19wrapped_scan_configINS0_14default_configEN3c108BFloat16EEEPKS7_PS7_St10multipliesIS7_ES7_S7_NS1_19lookback_scan_stateIS7_Lb0ELb1EEEEEvT2_T3_mT5_T4_T7_jPT6_SM_bb
    .private_segment_fixed_size: 0
    .sgpr_count:     32
    .sgpr_spill_count: 0
    .symbol:         _ZN7rocprim17ROCPRIM_304000_NS6detail20lookback_scan_kernelILNS1_25lookback_scan_determinismE0ELb0ENS1_19wrapped_scan_configINS0_14default_configEN3c108BFloat16EEEPKS7_PS7_St10multipliesIS7_ES7_S7_NS1_19lookback_scan_stateIS7_Lb0ELb1EEEEEvT2_T3_mT5_T4_T7_jPT6_SM_bb.kd
    .uniform_work_group_size: 1
    .uses_dynamic_stack: false
    .vgpr_count:     67
    .vgpr_spill_count: 0
    .wavefront_size: 64
  - .args:
      - .address_space:  global
        .offset:         0
        .size:           8
        .value_kind:     global_buffer
      - .offset:         8
        .size:           8
        .value_kind:     by_value
      - .address_space:  global
        .offset:         16
        .size:           8
        .value_kind:     global_buffer
      - .offset:         24
        .size:           1
        .value_kind:     by_value
      - .offset:         32
        .size:           4
        .value_kind:     hidden_block_count_x
      - .offset:         36
        .size:           4
        .value_kind:     hidden_block_count_y
      - .offset:         40
        .size:           4
        .value_kind:     hidden_block_count_z
      - .offset:         44
        .size:           2
        .value_kind:     hidden_group_size_x
      - .offset:         46
        .size:           2
        .value_kind:     hidden_group_size_y
      - .offset:         48
        .size:           2
        .value_kind:     hidden_group_size_z
      - .offset:         50
        .size:           2
        .value_kind:     hidden_remainder_x
      - .offset:         52
        .size:           2
        .value_kind:     hidden_remainder_y
      - .offset:         54
        .size:           2
        .value_kind:     hidden_remainder_z
      - .offset:         72
        .size:           8
        .value_kind:     hidden_global_offset_x
      - .offset:         80
        .size:           8
        .value_kind:     hidden_global_offset_y
      - .offset:         88
        .size:           8
        .value_kind:     hidden_global_offset_z
      - .offset:         96
        .size:           2
        .value_kind:     hidden_grid_dims
    .group_segment_fixed_size: 0
    .kernarg_segment_align: 8
    .kernarg_segment_size: 288
    .language:       OpenCL C
    .language_version:
      - 2
      - 0
    .max_flat_workgroup_size: 512
    .name:           _ZN7rocprim17ROCPRIM_304000_NS6detail16transform_kernelINS1_24wrapped_transform_configINS0_14default_configEN3c108BFloat16EEES6_PS6_S8_NS0_8identityIS6_EEEEvT1_mT2_T3_
    .private_segment_fixed_size: 0
    .sgpr_count:     16
    .sgpr_spill_count: 0
    .symbol:         _ZN7rocprim17ROCPRIM_304000_NS6detail16transform_kernelINS1_24wrapped_transform_configINS0_14default_configEN3c108BFloat16EEES6_PS6_S8_NS0_8identityIS6_EEEEvT1_mT2_T3_.kd
    .uniform_work_group_size: 1
    .uses_dynamic_stack: false
    .vgpr_count:     8
    .vgpr_spill_count: 0
    .wavefront_size: 64
  - .args:
      - .address_space:  global
        .offset:         0
        .size:           8
        .value_kind:     global_buffer
      - .offset:         8
        .size:           8
        .value_kind:     by_value
      - .offset:         16
        .size:           2
        .value_kind:     by_value
      - .address_space:  global
        .offset:         24
        .size:           8
        .value_kind:     global_buffer
      - .offset:         32
        .size:           1
        .value_kind:     by_value
    .group_segment_fixed_size: 12288
    .kernarg_segment_align: 8
    .kernarg_segment_size: 36
    .language:       OpenCL C
    .language_version:
      - 2
      - 0
    .max_flat_workgroup_size: 256
    .name:           _ZN7rocprim17ROCPRIM_304000_NS6detail18single_scan_kernelILb0ENS1_19wrapped_scan_configINS0_14default_configEN3c108BFloat16EEEPKS6_PS6_St10multipliesIS6_ES6_S6_EEvT1_mT4_T2_T3_
    .private_segment_fixed_size: 0
    .sgpr_count:     60
    .sgpr_spill_count: 0
    .symbol:         _ZN7rocprim17ROCPRIM_304000_NS6detail18single_scan_kernelILb0ENS1_19wrapped_scan_configINS0_14default_configEN3c108BFloat16EEEPKS6_PS6_St10multipliesIS6_ES6_S6_EEvT1_mT4_T2_T3_.kd
    .uniform_work_group_size: 1
    .uses_dynamic_stack: false
    .vgpr_count:     40
    .vgpr_spill_count: 0
    .wavefront_size: 64
  - .args:
      - .address_space:  global
        .offset:         0
        .size:           8
        .value_kind:     global_buffer
      - .address_space:  global
        .offset:         8
        .size:           8
        .value_kind:     global_buffer
      - .offset:         16
        .size:           4
        .value_kind:     by_value
      - .offset:         20
        .size:           4
        .value_kind:     by_value
      - .offset:         24
        .size:           4
        .value_kind:     by_value
      - .offset:         28
        .size:           2
        .value_kind:     by_value
      - .offset:         30
        .size:           1
        .value_kind:     by_value
      - .offset:         32
        .size:           4
        .value_kind:     hidden_block_count_x
      - .offset:         36
        .size:           4
        .value_kind:     hidden_block_count_y
      - .offset:         40
        .size:           4
        .value_kind:     hidden_block_count_z
      - .offset:         44
        .size:           2
        .value_kind:     hidden_group_size_x
      - .offset:         46
        .size:           2
        .value_kind:     hidden_group_size_y
      - .offset:         48
        .size:           2
        .value_kind:     hidden_group_size_z
      - .offset:         50
        .size:           2
        .value_kind:     hidden_remainder_x
      - .offset:         52
        .size:           2
        .value_kind:     hidden_remainder_y
      - .offset:         54
        .size:           2
        .value_kind:     hidden_remainder_z
      - .offset:         72
        .size:           8
        .value_kind:     hidden_global_offset_x
      - .offset:         80
        .size:           8
        .value_kind:     hidden_global_offset_y
      - .offset:         88
        .size:           8
        .value_kind:     hidden_global_offset_z
      - .offset:         96
        .size:           2
        .value_kind:     hidden_grid_dims
      - .offset:         152
        .size:           4
        .value_kind:     hidden_dynamic_lds_size
    .group_segment_fixed_size: 0
    .kernarg_segment_align: 8
    .kernarg_segment_size: 288
    .language:       OpenCL C
    .language_version:
      - 2
      - 0
    .max_flat_workgroup_size: 1024
    .name:           _ZN2at6native32tensor_kernel_scan_innermost_dimIN3c108BFloat16ESt10multipliesIS3_EEEvPT_PKS6_jjjS6_T0_
    .private_segment_fixed_size: 0
    .sgpr_count:     39
    .sgpr_spill_count: 0
    .symbol:         _ZN2at6native32tensor_kernel_scan_innermost_dimIN3c108BFloat16ESt10multipliesIS3_EEEvPT_PKS6_jjjS6_T0_.kd
    .uniform_work_group_size: 1
    .uses_dynamic_stack: false
    .vgpr_count:     21
    .vgpr_spill_count: 0
    .wavefront_size: 64
  - .args:
      - .address_space:  global
        .offset:         0
        .size:           8
        .value_kind:     global_buffer
      - .address_space:  global
        .offset:         8
        .size:           8
        .value_kind:     global_buffer
      - .offset:         16
        .size:           4
        .value_kind:     by_value
      - .offset:         20
        .size:           4
        .value_kind:     by_value
      - .offset:         24
        .size:           4
        .value_kind:     by_value
      - .offset:         28
        .size:           2
        .value_kind:     by_value
      - .offset:         30
        .size:           1
        .value_kind:     by_value
      - .offset:         32
        .size:           4
        .value_kind:     hidden_block_count_x
      - .offset:         36
        .size:           4
        .value_kind:     hidden_block_count_y
      - .offset:         40
        .size:           4
        .value_kind:     hidden_block_count_z
      - .offset:         44
        .size:           2
        .value_kind:     hidden_group_size_x
      - .offset:         46
        .size:           2
        .value_kind:     hidden_group_size_y
      - .offset:         48
        .size:           2
        .value_kind:     hidden_group_size_z
      - .offset:         50
        .size:           2
        .value_kind:     hidden_remainder_x
      - .offset:         52
        .size:           2
        .value_kind:     hidden_remainder_y
      - .offset:         54
        .size:           2
        .value_kind:     hidden_remainder_z
      - .offset:         72
        .size:           8
        .value_kind:     hidden_global_offset_x
      - .offset:         80
        .size:           8
        .value_kind:     hidden_global_offset_y
      - .offset:         88
        .size:           8
        .value_kind:     hidden_global_offset_z
      - .offset:         96
        .size:           2
        .value_kind:     hidden_grid_dims
    .group_segment_fixed_size: 0
    .kernarg_segment_align: 8
    .kernarg_segment_size: 288
    .language:       OpenCL C
    .language_version:
      - 2
      - 0
    .max_flat_workgroup_size: 1024
    .name:           _ZN2at6native28tensor_kernel_scan_outer_dimIN3c108BFloat16EjSt10multipliesIS3_EEEvPT_PKS6_jjjS6_T1_
    .private_segment_fixed_size: 0
    .sgpr_count:     38
    .sgpr_spill_count: 0
    .symbol:         _ZN2at6native28tensor_kernel_scan_outer_dimIN3c108BFloat16EjSt10multipliesIS3_EEEvPT_PKS6_jjjS6_T1_.kd
    .uniform_work_group_size: 1
    .uses_dynamic_stack: false
    .vgpr_count:     11
    .vgpr_spill_count: 0
    .wavefront_size: 64
  - .args:
      - .address_space:  global
        .offset:         0
        .size:           8
        .value_kind:     global_buffer
      - .address_space:  global
        .offset:         8
        .size:           8
        .value_kind:     global_buffer
      - .offset:         16
        .size:           4
        .value_kind:     by_value
      - .offset:         20
        .size:           4
        .value_kind:     by_value
      - .offset:         24
        .size:           4
        .value_kind:     by_value
      - .offset:         28
        .size:           2
        .value_kind:     by_value
      - .offset:         30
        .size:           1
        .value_kind:     by_value
      - .offset:         32
        .size:           4
        .value_kind:     hidden_block_count_x
      - .offset:         36
        .size:           4
        .value_kind:     hidden_block_count_y
      - .offset:         40
        .size:           4
        .value_kind:     hidden_block_count_z
      - .offset:         44
        .size:           2
        .value_kind:     hidden_group_size_x
      - .offset:         46
        .size:           2
        .value_kind:     hidden_group_size_y
      - .offset:         48
        .size:           2
        .value_kind:     hidden_group_size_z
      - .offset:         50
        .size:           2
        .value_kind:     hidden_remainder_x
      - .offset:         52
        .size:           2
        .value_kind:     hidden_remainder_y
      - .offset:         54
        .size:           2
        .value_kind:     hidden_remainder_z
      - .offset:         72
        .size:           8
        .value_kind:     hidden_global_offset_x
      - .offset:         80
        .size:           8
        .value_kind:     hidden_global_offset_y
      - .offset:         88
        .size:           8
        .value_kind:     hidden_global_offset_z
      - .offset:         96
        .size:           2
        .value_kind:     hidden_grid_dims
    .group_segment_fixed_size: 0
    .kernarg_segment_align: 8
    .kernarg_segment_size: 288
    .language:       OpenCL C
    .language_version:
      - 2
      - 0
    .max_flat_workgroup_size: 1024
    .name:           _ZN2at6native28tensor_kernel_scan_outer_dimIN3c108BFloat16EmSt10multipliesIS3_EEEvPT_PKS6_jjjS6_T1_
    .private_segment_fixed_size: 0
    .sgpr_count:     36
    .sgpr_spill_count: 0
    .symbol:         _ZN2at6native28tensor_kernel_scan_outer_dimIN3c108BFloat16EmSt10multipliesIS3_EEEvPT_PKS6_jjjS6_T1_.kd
    .uniform_work_group_size: 1
    .uses_dynamic_stack: false
    .vgpr_count:     11
    .vgpr_spill_count: 0
    .wavefront_size: 64
amdhsa.target:   amdgcn-amd-amdhsa--gfx906
amdhsa.version:
  - 1
  - 2
...

	.end_amdgpu_metadata
